;; amdgpu-corpus repo=ROCm/rocSPARSE kind=compiled arch=gfx1250 opt=O3
	.amdgcn_target "amdgcn-amd-amdhsa--gfx1250"
	.amdhsa_code_object_version 6
	.section	.text._ZN9rocsparseL39csr2bsr_nnz_block_dim_equals_one_kernelILj256EiiEEvT1_21rocsparse_index_base_PKT0_S2_PS3_S6_,"axG",@progbits,_ZN9rocsparseL39csr2bsr_nnz_block_dim_equals_one_kernelILj256EiiEEvT1_21rocsparse_index_base_PKT0_S2_PS3_S6_,comdat
	.globl	_ZN9rocsparseL39csr2bsr_nnz_block_dim_equals_one_kernelILj256EiiEEvT1_21rocsparse_index_base_PKT0_S2_PS3_S6_ ; -- Begin function _ZN9rocsparseL39csr2bsr_nnz_block_dim_equals_one_kernelILj256EiiEEvT1_21rocsparse_index_base_PKT0_S2_PS3_S6_
	.p2align	8
	.type	_ZN9rocsparseL39csr2bsr_nnz_block_dim_equals_one_kernelILj256EiiEEvT1_21rocsparse_index_base_PKT0_S2_PS3_S6_,@function
_ZN9rocsparseL39csr2bsr_nnz_block_dim_equals_one_kernelILj256EiiEEvT1_21rocsparse_index_base_PKT0_S2_PS3_S6_: ; @_ZN9rocsparseL39csr2bsr_nnz_block_dim_equals_one_kernelILj256EiiEEvT1_21rocsparse_index_base_PKT0_S2_PS3_S6_
; %bb.0:
	s_clause 0x1
	s_load_b32 s2, s[0:1], 0x34
	s_load_b128 s[4:7], s[0:1], 0x0
	s_bfe_u32 s3, ttmp6, 0x4000c
	s_and_b32 s8, ttmp6, 15
	s_add_co_i32 s3, s3, 1
	s_getreg_b32 s9, hwreg(HW_REG_IB_STS2, 6, 4)
	s_mul_i32 s3, ttmp9, s3
	s_delay_alu instid0(SALU_CYCLE_1) | instskip(SKIP_4) | instid1(SALU_CYCLE_1)
	s_add_co_i32 s8, s8, s3
	s_wait_kmcnt 0x0
	s_and_b32 s2, s2, 0xffff
	s_cmp_eq_u32 s9, 0
	s_cselect_b32 s3, ttmp9, s8
	v_mad_u32 v0, s3, s2, v0
	s_mov_b32 s2, exec_lo
	s_delay_alu instid0(VALU_DEP_1)
	v_cmpx_ge_i32_e64 s4, v0
	s_cbranch_execz .LBB0_2
; %bb.1:
	global_load_b32 v1, v0, s[6:7] scale_offset
	s_clause 0x1
	s_load_b32 s3, s[0:1], 0x10
	s_load_b64 s[8:9], s[0:1], 0x18
	s_wait_kmcnt 0x0
	s_sub_co_i32 s3, s3, s5
	s_wait_loadcnt 0x0
	v_add_nc_u32_e32 v1, s3, v1
	global_store_b32 v0, v1, s[8:9] scale_offset
.LBB0_2:
	s_wait_xcnt 0x0
	s_or_b32 exec_lo, exec_lo, s2
	s_delay_alu instid0(SALU_CYCLE_1)
	s_mov_b32 s2, exec_lo
	v_cmpx_eq_u32_e32 0, v0
	s_cbranch_execz .LBB0_4
; %bb.3:
	s_ashr_i32 s5, s4, 31
	s_delay_alu instid0(SALU_CYCLE_1) | instskip(NEXT) | instid1(SALU_CYCLE_1)
	s_lshl_b64 s[2:3], s[4:5], 2
	s_add_nc_u64 s[2:3], s[6:7], s[2:3]
	s_clause 0x1
	s_load_b32 s8, s[2:3], 0x0
	s_load_b32 s9, s[6:7], 0x0
	s_load_b64 s[4:5], s[0:1], 0x20
	s_wait_kmcnt 0x0
	s_sub_co_i32 s0, s8, s9
	s_delay_alu instid0(SALU_CYCLE_1)
	v_dual_mov_b32 v0, 0 :: v_dual_mov_b32 v1, s0
	global_store_b32 v0, v1, s[4:5]
.LBB0_4:
	s_endpgm
	.section	.rodata,"a",@progbits
	.p2align	6, 0x0
	.amdhsa_kernel _ZN9rocsparseL39csr2bsr_nnz_block_dim_equals_one_kernelILj256EiiEEvT1_21rocsparse_index_base_PKT0_S2_PS3_S6_
		.amdhsa_group_segment_fixed_size 0
		.amdhsa_private_segment_fixed_size 0
		.amdhsa_kernarg_size 296
		.amdhsa_user_sgpr_count 2
		.amdhsa_user_sgpr_dispatch_ptr 0
		.amdhsa_user_sgpr_queue_ptr 0
		.amdhsa_user_sgpr_kernarg_segment_ptr 1
		.amdhsa_user_sgpr_dispatch_id 0
		.amdhsa_user_sgpr_kernarg_preload_length 0
		.amdhsa_user_sgpr_kernarg_preload_offset 0
		.amdhsa_user_sgpr_private_segment_size 0
		.amdhsa_wavefront_size32 1
		.amdhsa_uses_dynamic_stack 0
		.amdhsa_enable_private_segment 0
		.amdhsa_system_sgpr_workgroup_id_x 1
		.amdhsa_system_sgpr_workgroup_id_y 0
		.amdhsa_system_sgpr_workgroup_id_z 0
		.amdhsa_system_sgpr_workgroup_info 0
		.amdhsa_system_vgpr_workitem_id 0
		.amdhsa_next_free_vgpr 2
		.amdhsa_next_free_sgpr 10
		.amdhsa_named_barrier_count 0
		.amdhsa_reserve_vcc 0
		.amdhsa_float_round_mode_32 0
		.amdhsa_float_round_mode_16_64 0
		.amdhsa_float_denorm_mode_32 3
		.amdhsa_float_denorm_mode_16_64 3
		.amdhsa_fp16_overflow 0
		.amdhsa_memory_ordered 1
		.amdhsa_forward_progress 1
		.amdhsa_inst_pref_size 3
		.amdhsa_round_robin_scheduling 0
		.amdhsa_exception_fp_ieee_invalid_op 0
		.amdhsa_exception_fp_denorm_src 0
		.amdhsa_exception_fp_ieee_div_zero 0
		.amdhsa_exception_fp_ieee_overflow 0
		.amdhsa_exception_fp_ieee_underflow 0
		.amdhsa_exception_fp_ieee_inexact 0
		.amdhsa_exception_int_div_zero 0
	.end_amdhsa_kernel
	.section	.text._ZN9rocsparseL39csr2bsr_nnz_block_dim_equals_one_kernelILj256EiiEEvT1_21rocsparse_index_base_PKT0_S2_PS3_S6_,"axG",@progbits,_ZN9rocsparseL39csr2bsr_nnz_block_dim_equals_one_kernelILj256EiiEEvT1_21rocsparse_index_base_PKT0_S2_PS3_S6_,comdat
.Lfunc_end0:
	.size	_ZN9rocsparseL39csr2bsr_nnz_block_dim_equals_one_kernelILj256EiiEEvT1_21rocsparse_index_base_PKT0_S2_PS3_S6_, .Lfunc_end0-_ZN9rocsparseL39csr2bsr_nnz_block_dim_equals_one_kernelILj256EiiEEvT1_21rocsparse_index_base_PKT0_S2_PS3_S6_
                                        ; -- End function
	.set _ZN9rocsparseL39csr2bsr_nnz_block_dim_equals_one_kernelILj256EiiEEvT1_21rocsparse_index_base_PKT0_S2_PS3_S6_.num_vgpr, 2
	.set _ZN9rocsparseL39csr2bsr_nnz_block_dim_equals_one_kernelILj256EiiEEvT1_21rocsparse_index_base_PKT0_S2_PS3_S6_.num_agpr, 0
	.set _ZN9rocsparseL39csr2bsr_nnz_block_dim_equals_one_kernelILj256EiiEEvT1_21rocsparse_index_base_PKT0_S2_PS3_S6_.numbered_sgpr, 10
	.set _ZN9rocsparseL39csr2bsr_nnz_block_dim_equals_one_kernelILj256EiiEEvT1_21rocsparse_index_base_PKT0_S2_PS3_S6_.num_named_barrier, 0
	.set _ZN9rocsparseL39csr2bsr_nnz_block_dim_equals_one_kernelILj256EiiEEvT1_21rocsparse_index_base_PKT0_S2_PS3_S6_.private_seg_size, 0
	.set _ZN9rocsparseL39csr2bsr_nnz_block_dim_equals_one_kernelILj256EiiEEvT1_21rocsparse_index_base_PKT0_S2_PS3_S6_.uses_vcc, 0
	.set _ZN9rocsparseL39csr2bsr_nnz_block_dim_equals_one_kernelILj256EiiEEvT1_21rocsparse_index_base_PKT0_S2_PS3_S6_.uses_flat_scratch, 0
	.set _ZN9rocsparseL39csr2bsr_nnz_block_dim_equals_one_kernelILj256EiiEEvT1_21rocsparse_index_base_PKT0_S2_PS3_S6_.has_dyn_sized_stack, 0
	.set _ZN9rocsparseL39csr2bsr_nnz_block_dim_equals_one_kernelILj256EiiEEvT1_21rocsparse_index_base_PKT0_S2_PS3_S6_.has_recursion, 0
	.set _ZN9rocsparseL39csr2bsr_nnz_block_dim_equals_one_kernelILj256EiiEEvT1_21rocsparse_index_base_PKT0_S2_PS3_S6_.has_indirect_call, 0
	.section	.AMDGPU.csdata,"",@progbits
; Kernel info:
; codeLenInByte = 264
; TotalNumSgprs: 10
; NumVgprs: 2
; ScratchSize: 0
; MemoryBound: 0
; FloatMode: 240
; IeeeMode: 1
; LDSByteSize: 0 bytes/workgroup (compile time only)
; SGPRBlocks: 0
; VGPRBlocks: 0
; NumSGPRsForWavesPerEU: 10
; NumVGPRsForWavesPerEU: 2
; NamedBarCnt: 0
; Occupancy: 16
; WaveLimiterHint : 0
; COMPUTE_PGM_RSRC2:SCRATCH_EN: 0
; COMPUTE_PGM_RSRC2:USER_SGPR: 2
; COMPUTE_PGM_RSRC2:TRAP_HANDLER: 0
; COMPUTE_PGM_RSRC2:TGID_X_EN: 1
; COMPUTE_PGM_RSRC2:TGID_Y_EN: 0
; COMPUTE_PGM_RSRC2:TGID_Z_EN: 0
; COMPUTE_PGM_RSRC2:TIDIG_COMP_CNT: 0
	.section	.text._ZN9rocsparseL39csr2bsr_nnz_block_dim_equals_one_kernelILj256EiiEEvT1_21rocsparse_index_base_PKT0_S2_PS3_,"axG",@progbits,_ZN9rocsparseL39csr2bsr_nnz_block_dim_equals_one_kernelILj256EiiEEvT1_21rocsparse_index_base_PKT0_S2_PS3_,comdat
	.globl	_ZN9rocsparseL39csr2bsr_nnz_block_dim_equals_one_kernelILj256EiiEEvT1_21rocsparse_index_base_PKT0_S2_PS3_ ; -- Begin function _ZN9rocsparseL39csr2bsr_nnz_block_dim_equals_one_kernelILj256EiiEEvT1_21rocsparse_index_base_PKT0_S2_PS3_
	.p2align	8
	.type	_ZN9rocsparseL39csr2bsr_nnz_block_dim_equals_one_kernelILj256EiiEEvT1_21rocsparse_index_base_PKT0_S2_PS3_,@function
_ZN9rocsparseL39csr2bsr_nnz_block_dim_equals_one_kernelILj256EiiEEvT1_21rocsparse_index_base_PKT0_S2_PS3_: ; @_ZN9rocsparseL39csr2bsr_nnz_block_dim_equals_one_kernelILj256EiiEEvT1_21rocsparse_index_base_PKT0_S2_PS3_
; %bb.0:
	s_load_b64 s[2:3], s[0:1], 0x0
	s_bfe_u32 s4, ttmp6, 0x4000c
	s_and_b32 s5, ttmp6, 15
	s_add_co_i32 s4, s4, 1
	s_getreg_b32 s6, hwreg(HW_REG_IB_STS2, 6, 4)
	s_mul_i32 s4, ttmp9, s4
	s_delay_alu instid0(SALU_CYCLE_1) | instskip(SKIP_2) | instid1(SALU_CYCLE_1)
	s_add_co_i32 s5, s5, s4
	s_cmp_eq_u32 s6, 0
	s_cselect_b32 s4, ttmp9, s5
	v_lshl_or_b32 v0, s4, 8, v0
	s_wait_kmcnt 0x0
	s_delay_alu instid0(VALU_DEP_1)
	v_cmp_ge_i32_e32 vcc_lo, s2, v0
	s_and_saveexec_b32 s2, vcc_lo
	s_cbranch_execz .LBB1_2
; %bb.1:
	s_clause 0x1
	s_load_b96 s[4:6], s[0:1], 0x8
	s_load_b64 s[8:9], s[0:1], 0x18
	s_wait_kmcnt 0x0
	global_load_b32 v1, v0, s[4:5] scale_offset
	s_sub_co_i32 s0, s6, s3
	s_wait_loadcnt 0x0
	v_add_nc_u32_e32 v1, s0, v1
	global_store_b32 v0, v1, s[8:9] scale_offset
.LBB1_2:
	s_endpgm
	.section	.rodata,"a",@progbits
	.p2align	6, 0x0
	.amdhsa_kernel _ZN9rocsparseL39csr2bsr_nnz_block_dim_equals_one_kernelILj256EiiEEvT1_21rocsparse_index_base_PKT0_S2_PS3_
		.amdhsa_group_segment_fixed_size 0
		.amdhsa_private_segment_fixed_size 0
		.amdhsa_kernarg_size 32
		.amdhsa_user_sgpr_count 2
		.amdhsa_user_sgpr_dispatch_ptr 0
		.amdhsa_user_sgpr_queue_ptr 0
		.amdhsa_user_sgpr_kernarg_segment_ptr 1
		.amdhsa_user_sgpr_dispatch_id 0
		.amdhsa_user_sgpr_kernarg_preload_length 0
		.amdhsa_user_sgpr_kernarg_preload_offset 0
		.amdhsa_user_sgpr_private_segment_size 0
		.amdhsa_wavefront_size32 1
		.amdhsa_uses_dynamic_stack 0
		.amdhsa_enable_private_segment 0
		.amdhsa_system_sgpr_workgroup_id_x 1
		.amdhsa_system_sgpr_workgroup_id_y 0
		.amdhsa_system_sgpr_workgroup_id_z 0
		.amdhsa_system_sgpr_workgroup_info 0
		.amdhsa_system_vgpr_workitem_id 0
		.amdhsa_next_free_vgpr 2
		.amdhsa_next_free_sgpr 10
		.amdhsa_named_barrier_count 0
		.amdhsa_reserve_vcc 1
		.amdhsa_float_round_mode_32 0
		.amdhsa_float_round_mode_16_64 0
		.amdhsa_float_denorm_mode_32 3
		.amdhsa_float_denorm_mode_16_64 3
		.amdhsa_fp16_overflow 0
		.amdhsa_memory_ordered 1
		.amdhsa_forward_progress 1
		.amdhsa_inst_pref_size 2
		.amdhsa_round_robin_scheduling 0
		.amdhsa_exception_fp_ieee_invalid_op 0
		.amdhsa_exception_fp_denorm_src 0
		.amdhsa_exception_fp_ieee_div_zero 0
		.amdhsa_exception_fp_ieee_overflow 0
		.amdhsa_exception_fp_ieee_underflow 0
		.amdhsa_exception_fp_ieee_inexact 0
		.amdhsa_exception_int_div_zero 0
	.end_amdhsa_kernel
	.section	.text._ZN9rocsparseL39csr2bsr_nnz_block_dim_equals_one_kernelILj256EiiEEvT1_21rocsparse_index_base_PKT0_S2_PS3_,"axG",@progbits,_ZN9rocsparseL39csr2bsr_nnz_block_dim_equals_one_kernelILj256EiiEEvT1_21rocsparse_index_base_PKT0_S2_PS3_,comdat
.Lfunc_end1:
	.size	_ZN9rocsparseL39csr2bsr_nnz_block_dim_equals_one_kernelILj256EiiEEvT1_21rocsparse_index_base_PKT0_S2_PS3_, .Lfunc_end1-_ZN9rocsparseL39csr2bsr_nnz_block_dim_equals_one_kernelILj256EiiEEvT1_21rocsparse_index_base_PKT0_S2_PS3_
                                        ; -- End function
	.set _ZN9rocsparseL39csr2bsr_nnz_block_dim_equals_one_kernelILj256EiiEEvT1_21rocsparse_index_base_PKT0_S2_PS3_.num_vgpr, 2
	.set _ZN9rocsparseL39csr2bsr_nnz_block_dim_equals_one_kernelILj256EiiEEvT1_21rocsparse_index_base_PKT0_S2_PS3_.num_agpr, 0
	.set _ZN9rocsparseL39csr2bsr_nnz_block_dim_equals_one_kernelILj256EiiEEvT1_21rocsparse_index_base_PKT0_S2_PS3_.numbered_sgpr, 10
	.set _ZN9rocsparseL39csr2bsr_nnz_block_dim_equals_one_kernelILj256EiiEEvT1_21rocsparse_index_base_PKT0_S2_PS3_.num_named_barrier, 0
	.set _ZN9rocsparseL39csr2bsr_nnz_block_dim_equals_one_kernelILj256EiiEEvT1_21rocsparse_index_base_PKT0_S2_PS3_.private_seg_size, 0
	.set _ZN9rocsparseL39csr2bsr_nnz_block_dim_equals_one_kernelILj256EiiEEvT1_21rocsparse_index_base_PKT0_S2_PS3_.uses_vcc, 1
	.set _ZN9rocsparseL39csr2bsr_nnz_block_dim_equals_one_kernelILj256EiiEEvT1_21rocsparse_index_base_PKT0_S2_PS3_.uses_flat_scratch, 0
	.set _ZN9rocsparseL39csr2bsr_nnz_block_dim_equals_one_kernelILj256EiiEEvT1_21rocsparse_index_base_PKT0_S2_PS3_.has_dyn_sized_stack, 0
	.set _ZN9rocsparseL39csr2bsr_nnz_block_dim_equals_one_kernelILj256EiiEEvT1_21rocsparse_index_base_PKT0_S2_PS3_.has_recursion, 0
	.set _ZN9rocsparseL39csr2bsr_nnz_block_dim_equals_one_kernelILj256EiiEEvT1_21rocsparse_index_base_PKT0_S2_PS3_.has_indirect_call, 0
	.section	.AMDGPU.csdata,"",@progbits
; Kernel info:
; codeLenInByte = 140
; TotalNumSgprs: 12
; NumVgprs: 2
; ScratchSize: 0
; MemoryBound: 0
; FloatMode: 240
; IeeeMode: 1
; LDSByteSize: 0 bytes/workgroup (compile time only)
; SGPRBlocks: 0
; VGPRBlocks: 0
; NumSGPRsForWavesPerEU: 12
; NumVGPRsForWavesPerEU: 2
; NamedBarCnt: 0
; Occupancy: 16
; WaveLimiterHint : 0
; COMPUTE_PGM_RSRC2:SCRATCH_EN: 0
; COMPUTE_PGM_RSRC2:USER_SGPR: 2
; COMPUTE_PGM_RSRC2:TRAP_HANDLER: 0
; COMPUTE_PGM_RSRC2:TGID_X_EN: 1
; COMPUTE_PGM_RSRC2:TGID_Y_EN: 0
; COMPUTE_PGM_RSRC2:TGID_Z_EN: 0
; COMPUTE_PGM_RSRC2:TIDIG_COMP_CNT: 0
	.section	.text._ZN9rocsparseL46csr2bsr_nnz_wavefront_per_row_multipass_kernelILj256ELj16ELj4EiiEEvT3_S1_S1_S1_S1_21rocsparse_index_base_PKT2_PKS1_S2_PS3_,"axG",@progbits,_ZN9rocsparseL46csr2bsr_nnz_wavefront_per_row_multipass_kernelILj256ELj16ELj4EiiEEvT3_S1_S1_S1_S1_21rocsparse_index_base_PKT2_PKS1_S2_PS3_,comdat
	.globl	_ZN9rocsparseL46csr2bsr_nnz_wavefront_per_row_multipass_kernelILj256ELj16ELj4EiiEEvT3_S1_S1_S1_S1_21rocsparse_index_base_PKT2_PKS1_S2_PS3_ ; -- Begin function _ZN9rocsparseL46csr2bsr_nnz_wavefront_per_row_multipass_kernelILj256ELj16ELj4EiiEEvT3_S1_S1_S1_S1_21rocsparse_index_base_PKT2_PKS1_S2_PS3_
	.p2align	8
	.type	_ZN9rocsparseL46csr2bsr_nnz_wavefront_per_row_multipass_kernelILj256ELj16ELj4EiiEEvT3_S1_S1_S1_S1_21rocsparse_index_base_PKT2_PKS1_S2_PS3_,@function
_ZN9rocsparseL46csr2bsr_nnz_wavefront_per_row_multipass_kernelILj256ELj16ELj4EiiEEvT3_S1_S1_S1_S1_21rocsparse_index_base_PKT2_PKS1_S2_PS3_: ; @_ZN9rocsparseL46csr2bsr_nnz_wavefront_per_row_multipass_kernelILj256ELj16ELj4EiiEEvT3_S1_S1_S1_S1_21rocsparse_index_base_PKT2_PKS1_S2_PS3_
; %bb.0:
	s_clause 0x1
	s_load_b128 s[4:7], s[0:1], 0x8
	s_load_b32 s2, s[0:1], 0x0
	s_bfe_u32 s3, ttmp6, 0x4000c
	s_and_b32 s8, ttmp6, 15
	s_add_co_i32 s3, s3, 1
	s_getreg_b32 s9, hwreg(HW_REG_IB_STS2, 6, 4)
	s_mul_i32 s3, ttmp9, s3
	v_dual_mov_b32 v5, 0 :: v_dual_lshrrev_b32 v4, 4, v0
	s_add_co_i32 s8, s8, s3
	s_cmp_eq_u32 s9, 0
	v_bfe_u32 v6, v0, 2, 2
	s_cselect_b32 s3, ttmp9, s8
	s_load_b64 s[8:9], s[0:1], 0x18
	v_lshl_or_b32 v2, s3, 4, v4
	v_dual_lshlrev_b32 v3, 2, v4 :: v_dual_mov_b32 v15, 0
	ds_store_b32 v3, v5
	s_wait_kmcnt 0x0
	v_mad_u32 v1, v2, s6, v6
	s_wait_dscnt 0x0
	s_barrier_signal -1
	s_barrier_wait -1
	s_delay_alu instid0(VALU_DEP_1) | instskip(SKIP_2) | instid1(SALU_CYCLE_1)
	v_cmp_gt_i32_e32 vcc_lo, s2, v1
	v_cmp_gt_i32_e64 s2, s6, v6
	s_and_b32 s2, s2, vcc_lo
	s_and_saveexec_b32 s3, s2
	s_cbranch_execz .LBB2_2
; %bb.1:
	global_load_b32 v6, v1, s[8:9] scale_offset
	s_wait_loadcnt 0x0
	v_subrev_nc_u32_e32 v15, s7, v6
.LBB2_2:
	s_or_b32 exec_lo, exec_lo, s3
	s_and_saveexec_b32 s3, s2
	s_cbranch_execz .LBB2_4
; %bb.3:
	global_load_b32 v1, v1, s[8:9] offset:4 scale_offset
	s_wait_loadcnt 0x0
	v_subrev_nc_u32_e32 v5, s7, v1
.LBB2_4:
	s_or_b32 exec_lo, exec_lo, s3
	v_and_b32_e32 v6, 15, v0
	s_cmp_lt_i32 s5, 1
	s_delay_alu instid0(VALU_DEP_1)
	v_cmp_eq_u32_e32 vcc_lo, 0, v6
	s_cbranch_scc1 .LBB2_18
; %bb.5:
	v_mbcnt_lo_u32_b32 v1, -1, 0
	s_abs_i32 s12, s6
	s_load_b64 s[8:9], s[0:1], 0x20
	s_cvt_f32_u32 s2, s12
	s_delay_alu instid0(VALU_DEP_1) | instskip(SKIP_1) | instid1(SALU_CYCLE_1)
	v_dual_mov_b32 v17, 0 :: v_dual_bitop2_b32 v8, 1, v1 bitop3:0x14
	v_xor_b32_e32 v7, 2, v1
	v_rcp_iflag_f32_e32 v10, s2
	s_mov_b32 s11, 0
	s_ashr_i32 s6, s6, 31
	s_mov_b32 s13, s11
	v_cmp_gt_i32_e64 s2, 32, v7
	v_dual_mov_b32 v14, 1 :: v_dual_lshlrev_b32 v13, 2, v1
	s_delay_alu instid0(TRANS32_DEP_1) | instskip(NEXT) | instid1(VALU_DEP_3)
	v_readfirstlane_b32 s3, v10
	v_dual_cndmask_b32 v9, v1, v7, s2 :: v_dual_bitop2_b32 v10, 4, v1 bitop3:0x14
	v_cmp_gt_i32_e64 s2, 32, v8
	v_and_b32_e32 v7, 3, v0
	s_mul_f32 s3, s3, 0x4f7ffffe
	v_dual_cndmask_b32 v11, v1, v8, s2 :: v_dual_bitop2_b32 v0, 8, v1 bitop3:0x14
	s_delay_alu instid0(VALU_DEP_1) | instskip(NEXT) | instid1(VALU_DEP_2)
	v_dual_lshlrev_b32 v8, 2, v9 :: v_dual_lshlrev_b32 v9, 2, v11
	v_cmp_gt_i32_e64 s2, 32, v0
	s_delay_alu instid0(VALU_DEP_1) | instskip(SKIP_1) | instid1(VALU_DEP_1)
	v_cndmask_b32_e64 v0, v1, v0, s2
	v_cmp_gt_i32_e64 s2, 32, v10
	v_cndmask_b32_e64 v1, v1, v10, s2
	s_cvt_u32_f32 s2, s3
	s_sub_co_i32 s3, 0, s12
	v_dual_lshlrev_b32 v11, 2, v0 :: v_dual_bitop2_b32 v10, 12, v13 bitop3:0x54
	s_delay_alu instid0(SALU_CYCLE_1) | instskip(SKIP_3) | instid1(SALU_CYCLE_1)
	s_mul_i32 s3, s3, s2
	v_dual_mov_b32 v1, 0 :: v_dual_lshlrev_b32 v12, 2, v1
	v_or_b32_e32 v13, 60, v13
	s_mul_hi_u32 s3, s2, s3
	s_add_co_i32 s10, s2, s3
	s_branch .LBB2_7
.LBB2_6:                                ;   in Loop: Header=BB2_7 Depth=1
	s_or_b32 exec_lo, exec_lo, s2
	ds_bpermute_b32 v0, v11, v16
	s_wait_dscnt 0x0
	v_min_i32_e32 v0, v0, v16
	ds_bpermute_b32 v16, v12, v0
	s_wait_dscnt 0x0
	v_min_i32_e32 v0, v16, v0
	;; [unrolled: 3-line block ×4, first 2 shown]
	ds_bpermute_b32 v17, v13, v0
	s_wait_dscnt 0x0
	v_cmp_le_i32_e64 s2, s5, v17
	s_or_b32 s13, s2, s13
	s_delay_alu instid0(SALU_CYCLE_1)
	s_and_not1_b32 exec_lo, exec_lo, s13
	s_cbranch_execz .LBB2_17
.LBB2_7:                                ; =>This Loop Header: Depth=1
                                        ;     Child Loop BB2_10 Depth 2
	v_dual_mov_b32 v16, s5 :: v_dual_add_nc_u32 v15, v15, v7
	v_mov_b32_e32 v18, v5
	s_mov_b32 s14, exec_lo
	ds_store_b8 v4, v1 offset:64
	s_wait_dscnt 0x0
	v_cmpx_lt_i32_e64 v15, v5
	s_cbranch_execz .LBB2_15
; %bb.8:                                ;   in Loop: Header=BB2_7 Depth=1
	v_dual_mov_b32 v16, s5 :: v_dual_mov_b32 v18, v5
	s_mov_b32 s15, 0
	s_branch .LBB2_10
.LBB2_9:                                ;   in Loop: Header=BB2_10 Depth=2
	s_or_b32 exec_lo, exec_lo, s3
	v_add_nc_u32_e32 v15, 4, v15
	s_xor_b32 s2, s2, -1
	s_delay_alu instid0(VALU_DEP_1) | instskip(SKIP_1) | instid1(SALU_CYCLE_1)
	v_cmp_ge_i32_e64 s3, v15, v5
	s_or_b32 s2, s2, s3
	s_and_b32 s2, exec_lo, s2
	s_delay_alu instid0(SALU_CYCLE_1) | instskip(NEXT) | instid1(SALU_CYCLE_1)
	s_or_b32 s15, s2, s15
	s_and_not1_b32 exec_lo, exec_lo, s15
	s_cbranch_execz .LBB2_14
.LBB2_10:                               ;   Parent Loop BB2_7 Depth=1
                                        ; =>  This Inner Loop Header: Depth=2
	s_wait_kmcnt 0x0
	global_load_b32 v0, v15, s[8:9] scale_offset
	s_wait_loadcnt 0x0
	v_subrev_nc_u32_e32 v19, s7, v0
	s_delay_alu instid0(VALU_DEP_1) | instskip(NEXT) | instid1(VALU_DEP_1)
	v_sub_nc_u32_e32 v0, 0, v19
	v_dual_ashrrev_i32 v19, 31, v19 :: v_dual_max_i32 v0, v19, v0
	s_delay_alu instid0(VALU_DEP_1) | instskip(NEXT) | instid1(VALU_DEP_1)
	v_mul_u64_e32 v[20:21], s[10:11], v[0:1]
	v_mul_lo_u32 v20, v21, s12
	s_delay_alu instid0(VALU_DEP_1) | instskip(NEXT) | instid1(VALU_DEP_1)
	v_dual_sub_nc_u32 v0, v0, v20 :: v_dual_add_nc_u32 v20, 1, v21
	v_cmp_le_u32_e64 s2, s12, v0
	s_delay_alu instid0(VALU_DEP_1) | instskip(SKIP_1) | instid1(VALU_DEP_1)
	v_cndmask_b32_e64 v20, v21, v20, s2
	v_subrev_nc_u32_e32 v22, s12, v0
	v_dual_add_nc_u32 v21, 1, v20 :: v_dual_cndmask_b32 v0, v0, v22, s2
	s_delay_alu instid0(VALU_DEP_1) | instskip(NEXT) | instid1(VALU_DEP_1)
	v_cmp_le_u32_e64 s2, s12, v0
	v_dual_cndmask_b32 v0, v20, v21, s2 :: v_dual_bitop2_b32 v19, s6, v19 bitop3:0x14
	s_delay_alu instid0(VALU_DEP_1) | instskip(NEXT) | instid1(VALU_DEP_1)
	v_xor_b32_e32 v0, v0, v19
	v_dual_mov_b32 v0, v18 :: v_dual_sub_nc_u32 v19, v0, v19
	s_delay_alu instid0(VALU_DEP_1) | instskip(SKIP_3) | instid1(SALU_CYCLE_1)
	v_cmp_eq_u32_e64 s2, v19, v17
	v_cmp_ne_u32_e64 s3, v19, v17
	s_wait_xcnt 0x0
	s_and_saveexec_b32 s16, s3
	s_xor_b32 s3, exec_lo, s16
; %bb.11:                               ;   in Loop: Header=BB2_10 Depth=2
	v_min_i32_e32 v16, v19, v16
                                        ; implicit-def: $vgpr0
; %bb.12:                               ;   in Loop: Header=BB2_10 Depth=2
	s_or_saveexec_b32 s3, s3
	v_mov_b32_e32 v18, v15
	s_xor_b32 exec_lo, exec_lo, s3
	s_cbranch_execz .LBB2_9
; %bb.13:                               ;   in Loop: Header=BB2_10 Depth=2
	v_mov_b32_e32 v18, v0
	ds_store_b8 v4, v14 offset:64
	s_branch .LBB2_9
.LBB2_14:                               ;   in Loop: Header=BB2_7 Depth=1
	s_or_b32 exec_lo, exec_lo, s15
.LBB2_15:                               ;   in Loop: Header=BB2_7 Depth=1
	s_delay_alu instid0(SALU_CYCLE_1)
	s_or_b32 exec_lo, exec_lo, s14
	ds_bpermute_b32 v0, v8, v18
	s_wait_dscnt 0x0
	ds_load_u8 v17, v4 offset:64
	v_min_i32_e32 v0, v0, v18
	ds_bpermute_b32 v15, v9, v0
	s_wait_dscnt 0x0
	v_min_i32_e32 v0, v15, v0
	ds_bpermute_b32 v15, v10, v0
	v_and_b32_e32 v0, 1, v17
	s_delay_alu instid0(VALU_DEP_1) | instskip(SKIP_1) | instid1(SALU_CYCLE_1)
	v_cmp_eq_u32_e64 s2, 1, v0
	s_and_b32 s3, vcc_lo, s2
	s_and_saveexec_b32 s2, s3
	s_cbranch_execz .LBB2_6
; %bb.16:                               ;   in Loop: Header=BB2_7 Depth=1
	ds_load_b32 v0, v3
	s_wait_dscnt 0x0
	v_add_nc_u32_e32 v0, 1, v0
	ds_store_b32 v3, v0
	s_branch .LBB2_6
.LBB2_17:
	s_or_b32 exec_lo, exec_lo, s13
.LBB2_18:
	s_delay_alu instid0(SALU_CYCLE_1)
	s_mov_b32 s2, exec_lo
	v_cmpx_eq_u32_e32 0, v6
	s_cbranch_execz .LBB2_21
; %bb.19:
	s_clause 0x1
	s_load_b32 s5, s[0:1], 0x28
	s_load_b64 s[2:3], s[0:1], 0x30
	v_mov_b32_e32 v0, 0
	v_cmp_gt_u32_e32 vcc_lo, s4, v2
	s_wait_kmcnt 0x0
	v_mov_b32_e32 v1, s5
	global_store_b32 v0, v1, s[2:3]
	s_wait_xcnt 0x0
	s_and_b32 exec_lo, exec_lo, vcc_lo
	s_cbranch_execz .LBB2_21
; %bb.20:
	ds_load_b32 v0, v3
	s_wait_dscnt 0x0
	global_store_b32 v2, v0, s[2:3] offset:4 scale_offset
.LBB2_21:
	s_endpgm
	.section	.rodata,"a",@progbits
	.p2align	6, 0x0
	.amdhsa_kernel _ZN9rocsparseL46csr2bsr_nnz_wavefront_per_row_multipass_kernelILj256ELj16ELj4EiiEEvT3_S1_S1_S1_S1_21rocsparse_index_base_PKT2_PKS1_S2_PS3_
		.amdhsa_group_segment_fixed_size 80
		.amdhsa_private_segment_fixed_size 0
		.amdhsa_kernarg_size 56
		.amdhsa_user_sgpr_count 2
		.amdhsa_user_sgpr_dispatch_ptr 0
		.amdhsa_user_sgpr_queue_ptr 0
		.amdhsa_user_sgpr_kernarg_segment_ptr 1
		.amdhsa_user_sgpr_dispatch_id 0
		.amdhsa_user_sgpr_kernarg_preload_length 0
		.amdhsa_user_sgpr_kernarg_preload_offset 0
		.amdhsa_user_sgpr_private_segment_size 0
		.amdhsa_wavefront_size32 1
		.amdhsa_uses_dynamic_stack 0
		.amdhsa_enable_private_segment 0
		.amdhsa_system_sgpr_workgroup_id_x 1
		.amdhsa_system_sgpr_workgroup_id_y 0
		.amdhsa_system_sgpr_workgroup_id_z 0
		.amdhsa_system_sgpr_workgroup_info 0
		.amdhsa_system_vgpr_workitem_id 0
		.amdhsa_next_free_vgpr 23
		.amdhsa_next_free_sgpr 17
		.amdhsa_named_barrier_count 0
		.amdhsa_reserve_vcc 1
		.amdhsa_float_round_mode_32 0
		.amdhsa_float_round_mode_16_64 0
		.amdhsa_float_denorm_mode_32 3
		.amdhsa_float_denorm_mode_16_64 3
		.amdhsa_fp16_overflow 0
		.amdhsa_memory_ordered 1
		.amdhsa_forward_progress 1
		.amdhsa_inst_pref_size 9
		.amdhsa_round_robin_scheduling 0
		.amdhsa_exception_fp_ieee_invalid_op 0
		.amdhsa_exception_fp_denorm_src 0
		.amdhsa_exception_fp_ieee_div_zero 0
		.amdhsa_exception_fp_ieee_overflow 0
		.amdhsa_exception_fp_ieee_underflow 0
		.amdhsa_exception_fp_ieee_inexact 0
		.amdhsa_exception_int_div_zero 0
	.end_amdhsa_kernel
	.section	.text._ZN9rocsparseL46csr2bsr_nnz_wavefront_per_row_multipass_kernelILj256ELj16ELj4EiiEEvT3_S1_S1_S1_S1_21rocsparse_index_base_PKT2_PKS1_S2_PS3_,"axG",@progbits,_ZN9rocsparseL46csr2bsr_nnz_wavefront_per_row_multipass_kernelILj256ELj16ELj4EiiEEvT3_S1_S1_S1_S1_21rocsparse_index_base_PKT2_PKS1_S2_PS3_,comdat
.Lfunc_end2:
	.size	_ZN9rocsparseL46csr2bsr_nnz_wavefront_per_row_multipass_kernelILj256ELj16ELj4EiiEEvT3_S1_S1_S1_S1_21rocsparse_index_base_PKT2_PKS1_S2_PS3_, .Lfunc_end2-_ZN9rocsparseL46csr2bsr_nnz_wavefront_per_row_multipass_kernelILj256ELj16ELj4EiiEEvT3_S1_S1_S1_S1_21rocsparse_index_base_PKT2_PKS1_S2_PS3_
                                        ; -- End function
	.set _ZN9rocsparseL46csr2bsr_nnz_wavefront_per_row_multipass_kernelILj256ELj16ELj4EiiEEvT3_S1_S1_S1_S1_21rocsparse_index_base_PKT2_PKS1_S2_PS3_.num_vgpr, 23
	.set _ZN9rocsparseL46csr2bsr_nnz_wavefront_per_row_multipass_kernelILj256ELj16ELj4EiiEEvT3_S1_S1_S1_S1_21rocsparse_index_base_PKT2_PKS1_S2_PS3_.num_agpr, 0
	.set _ZN9rocsparseL46csr2bsr_nnz_wavefront_per_row_multipass_kernelILj256ELj16ELj4EiiEEvT3_S1_S1_S1_S1_21rocsparse_index_base_PKT2_PKS1_S2_PS3_.numbered_sgpr, 17
	.set _ZN9rocsparseL46csr2bsr_nnz_wavefront_per_row_multipass_kernelILj256ELj16ELj4EiiEEvT3_S1_S1_S1_S1_21rocsparse_index_base_PKT2_PKS1_S2_PS3_.num_named_barrier, 0
	.set _ZN9rocsparseL46csr2bsr_nnz_wavefront_per_row_multipass_kernelILj256ELj16ELj4EiiEEvT3_S1_S1_S1_S1_21rocsparse_index_base_PKT2_PKS1_S2_PS3_.private_seg_size, 0
	.set _ZN9rocsparseL46csr2bsr_nnz_wavefront_per_row_multipass_kernelILj256ELj16ELj4EiiEEvT3_S1_S1_S1_S1_21rocsparse_index_base_PKT2_PKS1_S2_PS3_.uses_vcc, 1
	.set _ZN9rocsparseL46csr2bsr_nnz_wavefront_per_row_multipass_kernelILj256ELj16ELj4EiiEEvT3_S1_S1_S1_S1_21rocsparse_index_base_PKT2_PKS1_S2_PS3_.uses_flat_scratch, 0
	.set _ZN9rocsparseL46csr2bsr_nnz_wavefront_per_row_multipass_kernelILj256ELj16ELj4EiiEEvT3_S1_S1_S1_S1_21rocsparse_index_base_PKT2_PKS1_S2_PS3_.has_dyn_sized_stack, 0
	.set _ZN9rocsparseL46csr2bsr_nnz_wavefront_per_row_multipass_kernelILj256ELj16ELj4EiiEEvT3_S1_S1_S1_S1_21rocsparse_index_base_PKT2_PKS1_S2_PS3_.has_recursion, 0
	.set _ZN9rocsparseL46csr2bsr_nnz_wavefront_per_row_multipass_kernelILj256ELj16ELj4EiiEEvT3_S1_S1_S1_S1_21rocsparse_index_base_PKT2_PKS1_S2_PS3_.has_indirect_call, 0
	.section	.AMDGPU.csdata,"",@progbits
; Kernel info:
; codeLenInByte = 1124
; TotalNumSgprs: 19
; NumVgprs: 23
; ScratchSize: 0
; MemoryBound: 0
; FloatMode: 240
; IeeeMode: 1
; LDSByteSize: 80 bytes/workgroup (compile time only)
; SGPRBlocks: 0
; VGPRBlocks: 1
; NumSGPRsForWavesPerEU: 19
; NumVGPRsForWavesPerEU: 23
; NamedBarCnt: 0
; Occupancy: 16
; WaveLimiterHint : 0
; COMPUTE_PGM_RSRC2:SCRATCH_EN: 0
; COMPUTE_PGM_RSRC2:USER_SGPR: 2
; COMPUTE_PGM_RSRC2:TRAP_HANDLER: 0
; COMPUTE_PGM_RSRC2:TGID_X_EN: 1
; COMPUTE_PGM_RSRC2:TGID_Y_EN: 0
; COMPUTE_PGM_RSRC2:TGID_Z_EN: 0
; COMPUTE_PGM_RSRC2:TIDIG_COMP_CNT: 0
	.section	.text._ZN9rocsparseL46csr2bsr_nnz_wavefront_per_row_multipass_kernelILj256ELj64ELj8EiiEEvT3_S1_S1_S1_S1_21rocsparse_index_base_PKT2_PKS1_S2_PS3_,"axG",@progbits,_ZN9rocsparseL46csr2bsr_nnz_wavefront_per_row_multipass_kernelILj256ELj64ELj8EiiEEvT3_S1_S1_S1_S1_21rocsparse_index_base_PKT2_PKS1_S2_PS3_,comdat
	.globl	_ZN9rocsparseL46csr2bsr_nnz_wavefront_per_row_multipass_kernelILj256ELj64ELj8EiiEEvT3_S1_S1_S1_S1_21rocsparse_index_base_PKT2_PKS1_S2_PS3_ ; -- Begin function _ZN9rocsparseL46csr2bsr_nnz_wavefront_per_row_multipass_kernelILj256ELj64ELj8EiiEEvT3_S1_S1_S1_S1_21rocsparse_index_base_PKT2_PKS1_S2_PS3_
	.p2align	8
	.type	_ZN9rocsparseL46csr2bsr_nnz_wavefront_per_row_multipass_kernelILj256ELj64ELj8EiiEEvT3_S1_S1_S1_S1_21rocsparse_index_base_PKT2_PKS1_S2_PS3_,@function
_ZN9rocsparseL46csr2bsr_nnz_wavefront_per_row_multipass_kernelILj256ELj64ELj8EiiEEvT3_S1_S1_S1_S1_21rocsparse_index_base_PKT2_PKS1_S2_PS3_: ; @_ZN9rocsparseL46csr2bsr_nnz_wavefront_per_row_multipass_kernelILj256ELj64ELj8EiiEEvT3_S1_S1_S1_S1_21rocsparse_index_base_PKT2_PKS1_S2_PS3_
; %bb.0:
	s_clause 0x1
	s_load_b128 s[4:7], s[0:1], 0x8
	s_load_b32 s2, s[0:1], 0x0
	s_bfe_u32 s3, ttmp6, 0x4000c
	s_and_b32 s8, ttmp6, 15
	s_add_co_i32 s3, s3, 1
	s_getreg_b32 s9, hwreg(HW_REG_IB_STS2, 6, 4)
	s_mul_i32 s3, ttmp9, s3
	v_dual_mov_b32 v5, 0 :: v_dual_lshrrev_b32 v4, 6, v0
	s_add_co_i32 s8, s8, s3
	s_cmp_eq_u32 s9, 0
	v_bfe_u32 v6, v0, 3, 3
	s_cselect_b32 s3, ttmp9, s8
	s_load_b64 s[8:9], s[0:1], 0x18
	v_lshl_or_b32 v2, s3, 2, v4
	v_dual_lshlrev_b32 v3, 2, v4 :: v_dual_mov_b32 v17, 0
	ds_store_b32 v3, v5
	s_wait_kmcnt 0x0
	v_mad_u32 v1, v2, s6, v6
	s_wait_dscnt 0x0
	s_barrier_signal -1
	s_barrier_wait -1
	s_delay_alu instid0(VALU_DEP_1) | instskip(SKIP_2) | instid1(SALU_CYCLE_1)
	v_cmp_gt_i32_e32 vcc_lo, s2, v1
	v_cmp_gt_i32_e64 s2, s6, v6
	s_and_b32 s2, s2, vcc_lo
	s_and_saveexec_b32 s3, s2
	s_cbranch_execz .LBB3_2
; %bb.1:
	global_load_b32 v6, v1, s[8:9] scale_offset
	s_wait_loadcnt 0x0
	v_subrev_nc_u32_e32 v17, s7, v6
.LBB3_2:
	s_or_b32 exec_lo, exec_lo, s3
	s_and_saveexec_b32 s3, s2
	s_cbranch_execz .LBB3_4
; %bb.3:
	global_load_b32 v1, v1, s[8:9] offset:4 scale_offset
	s_wait_loadcnt 0x0
	v_subrev_nc_u32_e32 v5, s7, v1
.LBB3_4:
	s_or_b32 exec_lo, exec_lo, s3
	v_and_b32_e32 v6, 63, v0
	s_cmp_lt_i32 s5, 1
	s_delay_alu instid0(VALU_DEP_1)
	v_cmp_eq_u32_e32 vcc_lo, 0, v6
	s_cbranch_scc1 .LBB3_18
; %bb.5:
	v_mbcnt_lo_u32_b32 v1, -1, 0
	v_and_b32_e32 v7, 7, v0
	s_abs_i32 s12, s6
	s_load_b64 s[8:9], s[0:1], 0x20
	s_cvt_f32_u32 s3, s12
	v_xor_b32_e32 v8, 2, v1
	v_xor_b32_e32 v0, 4, v1
	;; [unrolled: 1-line block ×3, first 2 shown]
	v_or_b32_e32 v12, 32, v1
	v_bfrev_b32_e32 v15, 0.5
	s_mov_b32 s11, 0
	v_cmp_gt_i32_e64 s2, 32, v0
	s_ashr_i32 s6, s6, 31
	s_mov_b32 s13, s11
	v_dual_mov_b32 v16, 1 :: v_dual_bitop2_b32 v13, 16, v1 bitop3:0x14
	v_dual_cndmask_b32 v0, v1, v0, s2 :: v_dual_bitop2_b32 v9, 1, v1 bitop3:0x14
	v_cmp_gt_i32_e64 s2, 32, v8
	s_delay_alu instid0(VALU_DEP_1) | instskip(NEXT) | instid1(VALU_DEP_3)
	v_dual_mov_b32 v19, 0 :: v_dual_cndmask_b32 v10, v1, v8, s2
	v_lshlrev_b32_e32 v8, 2, v0
	s_delay_alu instid0(VALU_DEP_4) | instskip(SKIP_1) | instid1(VALU_DEP_1)
	v_cmp_gt_i32_e64 s2, 32, v9
	v_rcp_iflag_f32_e32 v0, s3
	v_cndmask_b32_e64 v11, v1, v9, s2
	v_cmp_gt_i32_e64 s2, 32, v12
	v_lshlrev_b32_e32 v9, 2, v10
	s_delay_alu instid0(TRANS32_DEP_1) | instskip(NEXT) | instid1(VALU_DEP_3)
	v_readfirstlane_b32 s3, v0
	v_dual_cndmask_b32 v0, v1, v12, s2 :: v_dual_lshlrev_b32 v10, 2, v11
	v_cmp_gt_i32_e64 s2, 32, v13
	s_mul_f32 s3, s3, 0x4f7ffffe
	v_lshl_or_b32 v11, v1, 2, 28
	v_dual_lshlrev_b32 v12, 2, v0 :: v_dual_cndmask_b32 v13, v1, v13, s2
	v_cmp_gt_i32_e64 s2, 32, v14
	s_delay_alu instid0(VALU_DEP_1) | instskip(SKIP_2) | instid1(SALU_CYCLE_2)
	v_cndmask_b32_e64 v1, v1, v14, s2
	s_cvt_u32_f32 s2, s3
	s_sub_co_i32 s3, 0, s12
	s_mul_i32 s3, s3, s2
	s_delay_alu instid0(VALU_DEP_1) | instskip(SKIP_2) | instid1(SALU_CYCLE_1)
	v_dual_mov_b32 v1, 0 :: v_dual_lshlrev_b32 v14, 2, v1
	v_lshlrev_b32_e32 v13, 2, v13
	s_mul_hi_u32 s3, s2, s3
	s_add_co_i32 s10, s2, s3
	s_branch .LBB3_7
.LBB3_6:                                ;   in Loop: Header=BB3_7 Depth=1
	s_or_b32 exec_lo, exec_lo, s2
	ds_bpermute_b32 v0, v12, v18
	s_wait_dscnt 0x0
	v_min_i32_e32 v0, v0, v18
	ds_bpermute_b32 v18, v13, v0
	s_wait_dscnt 0x0
	v_min_i32_e32 v0, v18, v0
	;; [unrolled: 3-line block ×6, first 2 shown]
	ds_bpermute_b32 v19, v15, v0
	s_wait_dscnt 0x0
	v_cmp_le_i32_e64 s2, s5, v19
	s_or_b32 s13, s2, s13
	s_delay_alu instid0(SALU_CYCLE_1)
	s_and_not1_b32 exec_lo, exec_lo, s13
	s_cbranch_execz .LBB3_17
.LBB3_7:                                ; =>This Loop Header: Depth=1
                                        ;     Child Loop BB3_10 Depth 2
	v_dual_mov_b32 v18, s5 :: v_dual_add_nc_u32 v17, v17, v7
	v_mov_b32_e32 v20, v5
	s_mov_b32 s14, exec_lo
	ds_store_b8 v4, v1 offset:16
	s_wait_dscnt 0x0
	v_cmpx_lt_i32_e64 v17, v5
	s_cbranch_execz .LBB3_15
; %bb.8:                                ;   in Loop: Header=BB3_7 Depth=1
	v_dual_mov_b32 v18, s5 :: v_dual_mov_b32 v20, v5
	s_mov_b32 s15, 0
	s_branch .LBB3_10
.LBB3_9:                                ;   in Loop: Header=BB3_10 Depth=2
	s_or_b32 exec_lo, exec_lo, s3
	v_add_nc_u32_e32 v17, 8, v17
	s_xor_b32 s2, s2, -1
	s_delay_alu instid0(VALU_DEP_1) | instskip(SKIP_1) | instid1(SALU_CYCLE_1)
	v_cmp_ge_i32_e64 s3, v17, v5
	s_or_b32 s2, s2, s3
	s_and_b32 s2, exec_lo, s2
	s_delay_alu instid0(SALU_CYCLE_1) | instskip(NEXT) | instid1(SALU_CYCLE_1)
	s_or_b32 s15, s2, s15
	s_and_not1_b32 exec_lo, exec_lo, s15
	s_cbranch_execz .LBB3_14
.LBB3_10:                               ;   Parent Loop BB3_7 Depth=1
                                        ; =>  This Inner Loop Header: Depth=2
	s_wait_kmcnt 0x0
	global_load_b32 v0, v17, s[8:9] scale_offset
	s_wait_loadcnt 0x0
	v_subrev_nc_u32_e32 v21, s7, v0
	s_delay_alu instid0(VALU_DEP_1) | instskip(NEXT) | instid1(VALU_DEP_1)
	v_sub_nc_u32_e32 v0, 0, v21
	v_dual_ashrrev_i32 v21, 31, v21 :: v_dual_max_i32 v0, v21, v0
	s_delay_alu instid0(VALU_DEP_1) | instskip(NEXT) | instid1(VALU_DEP_1)
	v_mul_u64_e32 v[22:23], s[10:11], v[0:1]
	v_mul_lo_u32 v22, v23, s12
	s_delay_alu instid0(VALU_DEP_1) | instskip(NEXT) | instid1(VALU_DEP_1)
	v_dual_sub_nc_u32 v0, v0, v22 :: v_dual_add_nc_u32 v22, 1, v23
	v_subrev_nc_u32_e32 v24, s12, v0
	v_cmp_le_u32_e64 s2, s12, v0
	s_delay_alu instid0(VALU_DEP_1) | instskip(NEXT) | instid1(VALU_DEP_1)
	v_dual_cndmask_b32 v22, v23, v22, s2 :: v_dual_cndmask_b32 v0, v0, v24, s2
	v_add_nc_u32_e32 v23, 1, v22
	s_delay_alu instid0(VALU_DEP_2) | instskip(NEXT) | instid1(VALU_DEP_1)
	v_cmp_le_u32_e64 s2, s12, v0
	v_dual_cndmask_b32 v0, v22, v23, s2 :: v_dual_bitop2_b32 v21, s6, v21 bitop3:0x14
	s_delay_alu instid0(VALU_DEP_1) | instskip(NEXT) | instid1(VALU_DEP_1)
	v_xor_b32_e32 v0, v0, v21
	v_sub_nc_u32_e32 v21, v0, v21
	v_mov_b32_e32 v0, v20
	s_delay_alu instid0(VALU_DEP_2) | instskip(SKIP_3) | instid1(SALU_CYCLE_1)
	v_cmp_eq_u32_e64 s2, v21, v19
	v_cmp_ne_u32_e64 s3, v21, v19
	s_wait_xcnt 0x0
	s_and_saveexec_b32 s16, s3
	s_xor_b32 s3, exec_lo, s16
; %bb.11:                               ;   in Loop: Header=BB3_10 Depth=2
	v_min_i32_e32 v18, v21, v18
                                        ; implicit-def: $vgpr0
; %bb.12:                               ;   in Loop: Header=BB3_10 Depth=2
	s_or_saveexec_b32 s3, s3
	v_mov_b32_e32 v20, v17
	s_xor_b32 exec_lo, exec_lo, s3
	s_cbranch_execz .LBB3_9
; %bb.13:                               ;   in Loop: Header=BB3_10 Depth=2
	v_mov_b32_e32 v20, v0
	ds_store_b8 v4, v16 offset:16
	s_branch .LBB3_9
.LBB3_14:                               ;   in Loop: Header=BB3_7 Depth=1
	s_or_b32 exec_lo, exec_lo, s15
.LBB3_15:                               ;   in Loop: Header=BB3_7 Depth=1
	s_delay_alu instid0(SALU_CYCLE_1)
	s_or_b32 exec_lo, exec_lo, s14
	ds_bpermute_b32 v0, v8, v20
	s_wait_dscnt 0x0
	ds_load_u8 v19, v4 offset:16
	v_min_i32_e32 v0, v0, v20
	ds_bpermute_b32 v17, v9, v0
	s_wait_dscnt 0x0
	v_min_i32_e32 v0, v17, v0
	ds_bpermute_b32 v17, v10, v0
	s_wait_dscnt 0x0
	v_min_i32_e32 v0, v17, v0
	ds_bpermute_b32 v17, v11, v0
	v_and_b32_e32 v0, 1, v19
	s_delay_alu instid0(VALU_DEP_1) | instskip(SKIP_1) | instid1(SALU_CYCLE_1)
	v_cmp_eq_u32_e64 s2, 1, v0
	s_and_b32 s3, vcc_lo, s2
	s_and_saveexec_b32 s2, s3
	s_cbranch_execz .LBB3_6
; %bb.16:                               ;   in Loop: Header=BB3_7 Depth=1
	ds_load_b32 v0, v3
	s_wait_dscnt 0x0
	v_add_nc_u32_e32 v0, 1, v0
	ds_store_b32 v3, v0
	s_branch .LBB3_6
.LBB3_17:
	s_or_b32 exec_lo, exec_lo, s13
.LBB3_18:
	s_delay_alu instid0(SALU_CYCLE_1)
	s_mov_b32 s2, exec_lo
	v_cmpx_eq_u32_e32 0, v6
	s_cbranch_execz .LBB3_21
; %bb.19:
	s_clause 0x1
	s_load_b32 s5, s[0:1], 0x28
	s_load_b64 s[2:3], s[0:1], 0x30
	v_mov_b32_e32 v0, 0
	v_cmp_gt_u32_e32 vcc_lo, s4, v2
	s_wait_kmcnt 0x0
	v_mov_b32_e32 v1, s5
	global_store_b32 v0, v1, s[2:3]
	s_wait_xcnt 0x0
	s_and_b32 exec_lo, exec_lo, vcc_lo
	s_cbranch_execz .LBB3_21
; %bb.20:
	ds_load_b32 v0, v3
	s_wait_dscnt 0x0
	global_store_b32 v2, v0, s[2:3] offset:4 scale_offset
.LBB3_21:
	s_endpgm
	.section	.rodata,"a",@progbits
	.p2align	6, 0x0
	.amdhsa_kernel _ZN9rocsparseL46csr2bsr_nnz_wavefront_per_row_multipass_kernelILj256ELj64ELj8EiiEEvT3_S1_S1_S1_S1_21rocsparse_index_base_PKT2_PKS1_S2_PS3_
		.amdhsa_group_segment_fixed_size 20
		.amdhsa_private_segment_fixed_size 0
		.amdhsa_kernarg_size 56
		.amdhsa_user_sgpr_count 2
		.amdhsa_user_sgpr_dispatch_ptr 0
		.amdhsa_user_sgpr_queue_ptr 0
		.amdhsa_user_sgpr_kernarg_segment_ptr 1
		.amdhsa_user_sgpr_dispatch_id 0
		.amdhsa_user_sgpr_kernarg_preload_length 0
		.amdhsa_user_sgpr_kernarg_preload_offset 0
		.amdhsa_user_sgpr_private_segment_size 0
		.amdhsa_wavefront_size32 1
		.amdhsa_uses_dynamic_stack 0
		.amdhsa_enable_private_segment 0
		.amdhsa_system_sgpr_workgroup_id_x 1
		.amdhsa_system_sgpr_workgroup_id_y 0
		.amdhsa_system_sgpr_workgroup_id_z 0
		.amdhsa_system_sgpr_workgroup_info 0
		.amdhsa_system_vgpr_workitem_id 0
		.amdhsa_next_free_vgpr 25
		.amdhsa_next_free_sgpr 17
		.amdhsa_named_barrier_count 0
		.amdhsa_reserve_vcc 1
		.amdhsa_float_round_mode_32 0
		.amdhsa_float_round_mode_16_64 0
		.amdhsa_float_denorm_mode_32 3
		.amdhsa_float_denorm_mode_16_64 3
		.amdhsa_fp16_overflow 0
		.amdhsa_memory_ordered 1
		.amdhsa_forward_progress 1
		.amdhsa_inst_pref_size 10
		.amdhsa_round_robin_scheduling 0
		.amdhsa_exception_fp_ieee_invalid_op 0
		.amdhsa_exception_fp_denorm_src 0
		.amdhsa_exception_fp_ieee_div_zero 0
		.amdhsa_exception_fp_ieee_overflow 0
		.amdhsa_exception_fp_ieee_underflow 0
		.amdhsa_exception_fp_ieee_inexact 0
		.amdhsa_exception_int_div_zero 0
	.end_amdhsa_kernel
	.section	.text._ZN9rocsparseL46csr2bsr_nnz_wavefront_per_row_multipass_kernelILj256ELj64ELj8EiiEEvT3_S1_S1_S1_S1_21rocsparse_index_base_PKT2_PKS1_S2_PS3_,"axG",@progbits,_ZN9rocsparseL46csr2bsr_nnz_wavefront_per_row_multipass_kernelILj256ELj64ELj8EiiEEvT3_S1_S1_S1_S1_21rocsparse_index_base_PKT2_PKS1_S2_PS3_,comdat
.Lfunc_end3:
	.size	_ZN9rocsparseL46csr2bsr_nnz_wavefront_per_row_multipass_kernelILj256ELj64ELj8EiiEEvT3_S1_S1_S1_S1_21rocsparse_index_base_PKT2_PKS1_S2_PS3_, .Lfunc_end3-_ZN9rocsparseL46csr2bsr_nnz_wavefront_per_row_multipass_kernelILj256ELj64ELj8EiiEEvT3_S1_S1_S1_S1_21rocsparse_index_base_PKT2_PKS1_S2_PS3_
                                        ; -- End function
	.set _ZN9rocsparseL46csr2bsr_nnz_wavefront_per_row_multipass_kernelILj256ELj64ELj8EiiEEvT3_S1_S1_S1_S1_21rocsparse_index_base_PKT2_PKS1_S2_PS3_.num_vgpr, 25
	.set _ZN9rocsparseL46csr2bsr_nnz_wavefront_per_row_multipass_kernelILj256ELj64ELj8EiiEEvT3_S1_S1_S1_S1_21rocsparse_index_base_PKT2_PKS1_S2_PS3_.num_agpr, 0
	.set _ZN9rocsparseL46csr2bsr_nnz_wavefront_per_row_multipass_kernelILj256ELj64ELj8EiiEEvT3_S1_S1_S1_S1_21rocsparse_index_base_PKT2_PKS1_S2_PS3_.numbered_sgpr, 17
	.set _ZN9rocsparseL46csr2bsr_nnz_wavefront_per_row_multipass_kernelILj256ELj64ELj8EiiEEvT3_S1_S1_S1_S1_21rocsparse_index_base_PKT2_PKS1_S2_PS3_.num_named_barrier, 0
	.set _ZN9rocsparseL46csr2bsr_nnz_wavefront_per_row_multipass_kernelILj256ELj64ELj8EiiEEvT3_S1_S1_S1_S1_21rocsparse_index_base_PKT2_PKS1_S2_PS3_.private_seg_size, 0
	.set _ZN9rocsparseL46csr2bsr_nnz_wavefront_per_row_multipass_kernelILj256ELj64ELj8EiiEEvT3_S1_S1_S1_S1_21rocsparse_index_base_PKT2_PKS1_S2_PS3_.uses_vcc, 1
	.set _ZN9rocsparseL46csr2bsr_nnz_wavefront_per_row_multipass_kernelILj256ELj64ELj8EiiEEvT3_S1_S1_S1_S1_21rocsparse_index_base_PKT2_PKS1_S2_PS3_.uses_flat_scratch, 0
	.set _ZN9rocsparseL46csr2bsr_nnz_wavefront_per_row_multipass_kernelILj256ELj64ELj8EiiEEvT3_S1_S1_S1_S1_21rocsparse_index_base_PKT2_PKS1_S2_PS3_.has_dyn_sized_stack, 0
	.set _ZN9rocsparseL46csr2bsr_nnz_wavefront_per_row_multipass_kernelILj256ELj64ELj8EiiEEvT3_S1_S1_S1_S1_21rocsparse_index_base_PKT2_PKS1_S2_PS3_.has_recursion, 0
	.set _ZN9rocsparseL46csr2bsr_nnz_wavefront_per_row_multipass_kernelILj256ELj64ELj8EiiEEvT3_S1_S1_S1_S1_21rocsparse_index_base_PKT2_PKS1_S2_PS3_.has_indirect_call, 0
	.section	.AMDGPU.csdata,"",@progbits
; Kernel info:
; codeLenInByte = 1208
; TotalNumSgprs: 19
; NumVgprs: 25
; ScratchSize: 0
; MemoryBound: 0
; FloatMode: 240
; IeeeMode: 1
; LDSByteSize: 20 bytes/workgroup (compile time only)
; SGPRBlocks: 0
; VGPRBlocks: 1
; NumSGPRsForWavesPerEU: 19
; NumVGPRsForWavesPerEU: 25
; NamedBarCnt: 0
; Occupancy: 16
; WaveLimiterHint : 0
; COMPUTE_PGM_RSRC2:SCRATCH_EN: 0
; COMPUTE_PGM_RSRC2:USER_SGPR: 2
; COMPUTE_PGM_RSRC2:TRAP_HANDLER: 0
; COMPUTE_PGM_RSRC2:TGID_X_EN: 1
; COMPUTE_PGM_RSRC2:TGID_Y_EN: 0
; COMPUTE_PGM_RSRC2:TGID_Z_EN: 0
; COMPUTE_PGM_RSRC2:TIDIG_COMP_CNT: 0
	.section	.text._ZN9rocsparseL46csr2bsr_nnz_wavefront_per_row_multipass_kernelILj256ELj32ELj8EiiEEvT3_S1_S1_S1_S1_21rocsparse_index_base_PKT2_PKS1_S2_PS3_,"axG",@progbits,_ZN9rocsparseL46csr2bsr_nnz_wavefront_per_row_multipass_kernelILj256ELj32ELj8EiiEEvT3_S1_S1_S1_S1_21rocsparse_index_base_PKT2_PKS1_S2_PS3_,comdat
	.globl	_ZN9rocsparseL46csr2bsr_nnz_wavefront_per_row_multipass_kernelILj256ELj32ELj8EiiEEvT3_S1_S1_S1_S1_21rocsparse_index_base_PKT2_PKS1_S2_PS3_ ; -- Begin function _ZN9rocsparseL46csr2bsr_nnz_wavefront_per_row_multipass_kernelILj256ELj32ELj8EiiEEvT3_S1_S1_S1_S1_21rocsparse_index_base_PKT2_PKS1_S2_PS3_
	.p2align	8
	.type	_ZN9rocsparseL46csr2bsr_nnz_wavefront_per_row_multipass_kernelILj256ELj32ELj8EiiEEvT3_S1_S1_S1_S1_21rocsparse_index_base_PKT2_PKS1_S2_PS3_,@function
_ZN9rocsparseL46csr2bsr_nnz_wavefront_per_row_multipass_kernelILj256ELj32ELj8EiiEEvT3_S1_S1_S1_S1_21rocsparse_index_base_PKT2_PKS1_S2_PS3_: ; @_ZN9rocsparseL46csr2bsr_nnz_wavefront_per_row_multipass_kernelILj256ELj32ELj8EiiEEvT3_S1_S1_S1_S1_21rocsparse_index_base_PKT2_PKS1_S2_PS3_
; %bb.0:
	s_clause 0x1
	s_load_b128 s[4:7], s[0:1], 0x8
	s_load_b32 s2, s[0:1], 0x0
	s_bfe_u32 s3, ttmp6, 0x4000c
	s_and_b32 s8, ttmp6, 15
	s_add_co_i32 s3, s3, 1
	s_getreg_b32 s9, hwreg(HW_REG_IB_STS2, 6, 4)
	s_mul_i32 s3, ttmp9, s3
	v_dual_mov_b32 v5, 0 :: v_dual_lshrrev_b32 v4, 5, v0
	s_add_co_i32 s8, s8, s3
	s_cmp_eq_u32 s9, 0
	v_bfe_u32 v6, v0, 2, 3
	s_cselect_b32 s3, ttmp9, s8
	s_load_b64 s[8:9], s[0:1], 0x18
	v_lshl_or_b32 v2, s3, 3, v4
	v_dual_mov_b32 v16, 0 :: v_dual_lshlrev_b32 v3, 2, v4
	ds_store_b32 v3, v5
	s_wait_kmcnt 0x0
	v_mad_u32 v1, v2, s6, v6
	s_wait_dscnt 0x0
	s_barrier_signal -1
	s_barrier_wait -1
	s_delay_alu instid0(VALU_DEP_1) | instskip(SKIP_2) | instid1(SALU_CYCLE_1)
	v_cmp_gt_i32_e32 vcc_lo, s2, v1
	v_cmp_gt_i32_e64 s2, s6, v6
	s_and_b32 s2, s2, vcc_lo
	s_and_saveexec_b32 s3, s2
	s_cbranch_execz .LBB4_2
; %bb.1:
	global_load_b32 v6, v1, s[8:9] scale_offset
	s_wait_loadcnt 0x0
	v_subrev_nc_u32_e32 v16, s7, v6
.LBB4_2:
	s_or_b32 exec_lo, exec_lo, s3
	s_and_saveexec_b32 s3, s2
	s_cbranch_execz .LBB4_4
; %bb.3:
	global_load_b32 v1, v1, s[8:9] offset:4 scale_offset
	s_wait_loadcnt 0x0
	v_subrev_nc_u32_e32 v5, s7, v1
.LBB4_4:
	s_or_b32 exec_lo, exec_lo, s3
	v_and_b32_e32 v6, 31, v0
	s_cmp_lt_i32 s5, 1
	s_delay_alu instid0(VALU_DEP_1)
	v_cmp_eq_u32_e32 vcc_lo, 0, v6
	s_cbranch_scc1 .LBB4_18
; %bb.5:
	v_mbcnt_lo_u32_b32 v1, -1, 0
	s_abs_i32 s12, s6
	s_load_b64 s[8:9], s[0:1], 0x20
	s_cvt_f32_u32 s3, s12
	s_mov_b32 s11, 0
	v_xor_b32_e32 v12, 16, v1
	v_xor_b32_e32 v8, 2, v1
	v_rcp_iflag_f32_e32 v11, s3
	v_lshl_or_b32 v10, v1, 2, 12
	s_ashr_i32 s6, s6, 31
	s_mov_b32 s13, s11
	v_cmp_gt_i32_e64 s2, 32, v8
	v_xor_b32_e32 v9, 1, v1
	v_and_b32_e32 v7, 3, v0
	v_readfirstlane_b32 s3, v11
	s_delay_alu instid0(VALU_DEP_4) | instskip(NEXT) | instid1(VALU_DEP_4)
	v_dual_mov_b32 v15, 1 :: v_dual_cndmask_b32 v0, v1, v8, s2
	v_cmp_gt_i32_e64 s2, 32, v9
	v_mov_b32_e32 v14, 0x7c
	s_mul_f32 s3, s3, 0x4f7ffffe
	v_dual_mov_b32 v18, 0 :: v_dual_lshlrev_b32 v8, 2, v0
	v_cndmask_b32_e64 v9, v1, v9, s2
	v_cmp_gt_i32_e64 s2, 32, v12
	s_delay_alu instid0(VALU_DEP_1) | instskip(NEXT) | instid1(VALU_DEP_1)
	v_dual_cndmask_b32 v11, v1, v12, s2 :: v_dual_bitop2_b32 v0, 8, v1 bitop3:0x14
	v_lshlrev_b32_e32 v11, 2, v11
	s_delay_alu instid0(VALU_DEP_2) | instskip(NEXT) | instid1(VALU_DEP_1)
	v_cmp_gt_i32_e64 s2, 32, v0
	v_dual_lshlrev_b32 v9, 2, v9 :: v_dual_cndmask_b32 v0, v1, v0, s2
	s_delay_alu instid0(VALU_DEP_1) | instskip(NEXT) | instid1(VALU_DEP_1)
	v_dual_lshlrev_b32 v12, 2, v0 :: v_dual_bitop2_b32 v13, 4, v1 bitop3:0x14
	v_cmp_gt_i32_e64 s2, 32, v13
	s_delay_alu instid0(VALU_DEP_1) | instskip(SKIP_2) | instid1(SALU_CYCLE_2)
	v_cndmask_b32_e64 v1, v1, v13, s2
	s_cvt_u32_f32 s2, s3
	s_sub_co_i32 s3, 0, s12
	s_mul_i32 s3, s3, s2
	s_delay_alu instid0(VALU_DEP_1) | instskip(SKIP_1) | instid1(SALU_CYCLE_1)
	v_dual_lshlrev_b32 v13, 2, v1 :: v_dual_mov_b32 v1, 0
	s_mul_hi_u32 s3, s2, s3
	s_add_co_i32 s10, s2, s3
	s_branch .LBB4_7
.LBB4_6:                                ;   in Loop: Header=BB4_7 Depth=1
	s_or_b32 exec_lo, exec_lo, s2
	ds_bpermute_b32 v0, v11, v17
	s_wait_dscnt 0x0
	v_min_i32_e32 v0, v0, v17
	ds_bpermute_b32 v17, v12, v0
	s_wait_dscnt 0x0
	v_min_i32_e32 v0, v17, v0
	;; [unrolled: 3-line block ×5, first 2 shown]
	ds_bpermute_b32 v18, v14, v0
	s_wait_dscnt 0x0
	v_cmp_le_i32_e64 s2, s5, v18
	s_or_b32 s13, s2, s13
	s_delay_alu instid0(SALU_CYCLE_1)
	s_and_not1_b32 exec_lo, exec_lo, s13
	s_cbranch_execz .LBB4_17
.LBB4_7:                                ; =>This Loop Header: Depth=1
                                        ;     Child Loop BB4_10 Depth 2
	v_dual_mov_b32 v17, s5 :: v_dual_add_nc_u32 v16, v16, v7
	v_mov_b32_e32 v19, v5
	s_mov_b32 s14, exec_lo
	ds_store_b8 v4, v1 offset:32
	s_wait_dscnt 0x0
	v_cmpx_lt_i32_e64 v16, v5
	s_cbranch_execz .LBB4_15
; %bb.8:                                ;   in Loop: Header=BB4_7 Depth=1
	v_dual_mov_b32 v17, s5 :: v_dual_mov_b32 v19, v5
	s_mov_b32 s15, 0
	s_branch .LBB4_10
.LBB4_9:                                ;   in Loop: Header=BB4_10 Depth=2
	s_or_b32 exec_lo, exec_lo, s3
	v_add_nc_u32_e32 v16, 4, v16
	s_xor_b32 s2, s2, -1
	s_delay_alu instid0(VALU_DEP_1) | instskip(SKIP_1) | instid1(SALU_CYCLE_1)
	v_cmp_ge_i32_e64 s3, v16, v5
	s_or_b32 s2, s2, s3
	s_and_b32 s2, exec_lo, s2
	s_delay_alu instid0(SALU_CYCLE_1) | instskip(NEXT) | instid1(SALU_CYCLE_1)
	s_or_b32 s15, s2, s15
	s_and_not1_b32 exec_lo, exec_lo, s15
	s_cbranch_execz .LBB4_14
.LBB4_10:                               ;   Parent Loop BB4_7 Depth=1
                                        ; =>  This Inner Loop Header: Depth=2
	s_wait_kmcnt 0x0
	global_load_b32 v0, v16, s[8:9] scale_offset
	s_wait_loadcnt 0x0
	v_subrev_nc_u32_e32 v22, s7, v0
	s_delay_alu instid0(VALU_DEP_1) | instskip(NEXT) | instid1(VALU_DEP_1)
	v_sub_nc_u32_e32 v0, 0, v22
	v_max_i32_e32 v0, v22, v0
	s_delay_alu instid0(VALU_DEP_1) | instskip(NEXT) | instid1(VALU_DEP_1)
	v_mul_u64_e32 v[20:21], s[10:11], v[0:1]
	v_mul_lo_u32 v20, v21, s12
	s_delay_alu instid0(VALU_DEP_1) | instskip(NEXT) | instid1(VALU_DEP_1)
	v_dual_sub_nc_u32 v0, v0, v20 :: v_dual_add_nc_u32 v20, 1, v21
	v_cmp_le_u32_e64 s2, s12, v0
	s_delay_alu instid0(VALU_DEP_1) | instskip(SKIP_1) | instid1(VALU_DEP_2)
	v_cndmask_b32_e64 v20, v21, v20, s2
	v_subrev_nc_u32_e32 v23, s12, v0
	v_dual_ashrrev_i32 v21, 31, v22 :: v_dual_add_nc_u32 v22, 1, v20
	s_delay_alu instid0(VALU_DEP_2) | instskip(NEXT) | instid1(VALU_DEP_1)
	v_cndmask_b32_e64 v0, v0, v23, s2
	v_cmp_le_u32_e64 s2, s12, v0
	s_delay_alu instid0(VALU_DEP_1) | instskip(NEXT) | instid1(VALU_DEP_1)
	v_dual_cndmask_b32 v0, v20, v22, s2 :: v_dual_bitop2_b32 v21, s6, v21 bitop3:0x14
	v_xor_b32_e32 v0, v0, v21
	s_delay_alu instid0(VALU_DEP_1) | instskip(NEXT) | instid1(VALU_DEP_1)
	v_dual_sub_nc_u32 v20, v0, v21 :: v_dual_mov_b32 v0, v19
	v_cmp_eq_u32_e64 s2, v20, v18
	v_cmp_ne_u32_e64 s3, v20, v18
	s_wait_xcnt 0x0
	s_and_saveexec_b32 s16, s3
	s_delay_alu instid0(SALU_CYCLE_1)
	s_xor_b32 s3, exec_lo, s16
; %bb.11:                               ;   in Loop: Header=BB4_10 Depth=2
	v_min_i32_e32 v17, v20, v17
                                        ; implicit-def: $vgpr0
; %bb.12:                               ;   in Loop: Header=BB4_10 Depth=2
	s_or_saveexec_b32 s3, s3
	v_mov_b32_e32 v19, v16
	s_xor_b32 exec_lo, exec_lo, s3
	s_cbranch_execz .LBB4_9
; %bb.13:                               ;   in Loop: Header=BB4_10 Depth=2
	v_mov_b32_e32 v19, v0
	ds_store_b8 v4, v15 offset:32
	s_branch .LBB4_9
.LBB4_14:                               ;   in Loop: Header=BB4_7 Depth=1
	s_or_b32 exec_lo, exec_lo, s15
.LBB4_15:                               ;   in Loop: Header=BB4_7 Depth=1
	s_delay_alu instid0(SALU_CYCLE_1)
	s_or_b32 exec_lo, exec_lo, s14
	ds_bpermute_b32 v0, v8, v19
	s_wait_dscnt 0x0
	ds_load_u8 v18, v4 offset:32
	v_min_i32_e32 v0, v0, v19
	ds_bpermute_b32 v16, v9, v0
	s_wait_dscnt 0x0
	v_min_i32_e32 v0, v16, v0
	ds_bpermute_b32 v16, v10, v0
	v_and_b32_e32 v0, 1, v18
	s_delay_alu instid0(VALU_DEP_1) | instskip(SKIP_1) | instid1(SALU_CYCLE_1)
	v_cmp_eq_u32_e64 s2, 1, v0
	s_and_b32 s3, vcc_lo, s2
	s_and_saveexec_b32 s2, s3
	s_cbranch_execz .LBB4_6
; %bb.16:                               ;   in Loop: Header=BB4_7 Depth=1
	ds_load_b32 v0, v3
	s_wait_dscnt 0x0
	v_add_nc_u32_e32 v0, 1, v0
	ds_store_b32 v3, v0
	s_branch .LBB4_6
.LBB4_17:
	s_or_b32 exec_lo, exec_lo, s13
.LBB4_18:
	s_delay_alu instid0(SALU_CYCLE_1)
	s_mov_b32 s2, exec_lo
	v_cmpx_eq_u32_e32 0, v6
	s_cbranch_execz .LBB4_21
; %bb.19:
	s_clause 0x1
	s_load_b32 s5, s[0:1], 0x28
	s_load_b64 s[2:3], s[0:1], 0x30
	v_mov_b32_e32 v0, 0
	v_cmp_gt_u32_e32 vcc_lo, s4, v2
	s_wait_kmcnt 0x0
	v_mov_b32_e32 v1, s5
	global_store_b32 v0, v1, s[2:3]
	s_wait_xcnt 0x0
	s_and_b32 exec_lo, exec_lo, vcc_lo
	s_cbranch_execz .LBB4_21
; %bb.20:
	ds_load_b32 v0, v3
	s_wait_dscnt 0x0
	global_store_b32 v2, v0, s[2:3] offset:4 scale_offset
.LBB4_21:
	s_endpgm
	.section	.rodata,"a",@progbits
	.p2align	6, 0x0
	.amdhsa_kernel _ZN9rocsparseL46csr2bsr_nnz_wavefront_per_row_multipass_kernelILj256ELj32ELj8EiiEEvT3_S1_S1_S1_S1_21rocsparse_index_base_PKT2_PKS1_S2_PS3_
		.amdhsa_group_segment_fixed_size 40
		.amdhsa_private_segment_fixed_size 0
		.amdhsa_kernarg_size 56
		.amdhsa_user_sgpr_count 2
		.amdhsa_user_sgpr_dispatch_ptr 0
		.amdhsa_user_sgpr_queue_ptr 0
		.amdhsa_user_sgpr_kernarg_segment_ptr 1
		.amdhsa_user_sgpr_dispatch_id 0
		.amdhsa_user_sgpr_kernarg_preload_length 0
		.amdhsa_user_sgpr_kernarg_preload_offset 0
		.amdhsa_user_sgpr_private_segment_size 0
		.amdhsa_wavefront_size32 1
		.amdhsa_uses_dynamic_stack 0
		.amdhsa_enable_private_segment 0
		.amdhsa_system_sgpr_workgroup_id_x 1
		.amdhsa_system_sgpr_workgroup_id_y 0
		.amdhsa_system_sgpr_workgroup_id_z 0
		.amdhsa_system_sgpr_workgroup_info 0
		.amdhsa_system_vgpr_workitem_id 0
		.amdhsa_next_free_vgpr 24
		.amdhsa_next_free_sgpr 17
		.amdhsa_named_barrier_count 0
		.amdhsa_reserve_vcc 1
		.amdhsa_float_round_mode_32 0
		.amdhsa_float_round_mode_16_64 0
		.amdhsa_float_denorm_mode_32 3
		.amdhsa_float_denorm_mode_16_64 3
		.amdhsa_fp16_overflow 0
		.amdhsa_memory_ordered 1
		.amdhsa_forward_progress 1
		.amdhsa_inst_pref_size 10
		.amdhsa_round_robin_scheduling 0
		.amdhsa_exception_fp_ieee_invalid_op 0
		.amdhsa_exception_fp_denorm_src 0
		.amdhsa_exception_fp_ieee_div_zero 0
		.amdhsa_exception_fp_ieee_overflow 0
		.amdhsa_exception_fp_ieee_underflow 0
		.amdhsa_exception_fp_ieee_inexact 0
		.amdhsa_exception_int_div_zero 0
	.end_amdhsa_kernel
	.section	.text._ZN9rocsparseL46csr2bsr_nnz_wavefront_per_row_multipass_kernelILj256ELj32ELj8EiiEEvT3_S1_S1_S1_S1_21rocsparse_index_base_PKT2_PKS1_S2_PS3_,"axG",@progbits,_ZN9rocsparseL46csr2bsr_nnz_wavefront_per_row_multipass_kernelILj256ELj32ELj8EiiEEvT3_S1_S1_S1_S1_21rocsparse_index_base_PKT2_PKS1_S2_PS3_,comdat
.Lfunc_end4:
	.size	_ZN9rocsparseL46csr2bsr_nnz_wavefront_per_row_multipass_kernelILj256ELj32ELj8EiiEEvT3_S1_S1_S1_S1_21rocsparse_index_base_PKT2_PKS1_S2_PS3_, .Lfunc_end4-_ZN9rocsparseL46csr2bsr_nnz_wavefront_per_row_multipass_kernelILj256ELj32ELj8EiiEEvT3_S1_S1_S1_S1_21rocsparse_index_base_PKT2_PKS1_S2_PS3_
                                        ; -- End function
	.set _ZN9rocsparseL46csr2bsr_nnz_wavefront_per_row_multipass_kernelILj256ELj32ELj8EiiEEvT3_S1_S1_S1_S1_21rocsparse_index_base_PKT2_PKS1_S2_PS3_.num_vgpr, 24
	.set _ZN9rocsparseL46csr2bsr_nnz_wavefront_per_row_multipass_kernelILj256ELj32ELj8EiiEEvT3_S1_S1_S1_S1_21rocsparse_index_base_PKT2_PKS1_S2_PS3_.num_agpr, 0
	.set _ZN9rocsparseL46csr2bsr_nnz_wavefront_per_row_multipass_kernelILj256ELj32ELj8EiiEEvT3_S1_S1_S1_S1_21rocsparse_index_base_PKT2_PKS1_S2_PS3_.numbered_sgpr, 17
	.set _ZN9rocsparseL46csr2bsr_nnz_wavefront_per_row_multipass_kernelILj256ELj32ELj8EiiEEvT3_S1_S1_S1_S1_21rocsparse_index_base_PKT2_PKS1_S2_PS3_.num_named_barrier, 0
	.set _ZN9rocsparseL46csr2bsr_nnz_wavefront_per_row_multipass_kernelILj256ELj32ELj8EiiEEvT3_S1_S1_S1_S1_21rocsparse_index_base_PKT2_PKS1_S2_PS3_.private_seg_size, 0
	.set _ZN9rocsparseL46csr2bsr_nnz_wavefront_per_row_multipass_kernelILj256ELj32ELj8EiiEEvT3_S1_S1_S1_S1_21rocsparse_index_base_PKT2_PKS1_S2_PS3_.uses_vcc, 1
	.set _ZN9rocsparseL46csr2bsr_nnz_wavefront_per_row_multipass_kernelILj256ELj32ELj8EiiEEvT3_S1_S1_S1_S1_21rocsparse_index_base_PKT2_PKS1_S2_PS3_.uses_flat_scratch, 0
	.set _ZN9rocsparseL46csr2bsr_nnz_wavefront_per_row_multipass_kernelILj256ELj32ELj8EiiEEvT3_S1_S1_S1_S1_21rocsparse_index_base_PKT2_PKS1_S2_PS3_.has_dyn_sized_stack, 0
	.set _ZN9rocsparseL46csr2bsr_nnz_wavefront_per_row_multipass_kernelILj256ELj32ELj8EiiEEvT3_S1_S1_S1_S1_21rocsparse_index_base_PKT2_PKS1_S2_PS3_.has_recursion, 0
	.set _ZN9rocsparseL46csr2bsr_nnz_wavefront_per_row_multipass_kernelILj256ELj32ELj8EiiEEvT3_S1_S1_S1_S1_21rocsparse_index_base_PKT2_PKS1_S2_PS3_.has_indirect_call, 0
	.section	.AMDGPU.csdata,"",@progbits
; Kernel info:
; codeLenInByte = 1176
; TotalNumSgprs: 19
; NumVgprs: 24
; ScratchSize: 0
; MemoryBound: 0
; FloatMode: 240
; IeeeMode: 1
; LDSByteSize: 40 bytes/workgroup (compile time only)
; SGPRBlocks: 0
; VGPRBlocks: 1
; NumSGPRsForWavesPerEU: 19
; NumVGPRsForWavesPerEU: 24
; NamedBarCnt: 0
; Occupancy: 16
; WaveLimiterHint : 0
; COMPUTE_PGM_RSRC2:SCRATCH_EN: 0
; COMPUTE_PGM_RSRC2:USER_SGPR: 2
; COMPUTE_PGM_RSRC2:TRAP_HANDLER: 0
; COMPUTE_PGM_RSRC2:TGID_X_EN: 1
; COMPUTE_PGM_RSRC2:TGID_Y_EN: 0
; COMPUTE_PGM_RSRC2:TGID_Z_EN: 0
; COMPUTE_PGM_RSRC2:TIDIG_COMP_CNT: 0
	.section	.text._ZN9rocsparseL46csr2bsr_nnz_wavefront_per_row_multipass_kernelILj256ELj64ELj16EiiEEvT3_S1_S1_S1_S1_21rocsparse_index_base_PKT2_PKS1_S2_PS3_,"axG",@progbits,_ZN9rocsparseL46csr2bsr_nnz_wavefront_per_row_multipass_kernelILj256ELj64ELj16EiiEEvT3_S1_S1_S1_S1_21rocsparse_index_base_PKT2_PKS1_S2_PS3_,comdat
	.globl	_ZN9rocsparseL46csr2bsr_nnz_wavefront_per_row_multipass_kernelILj256ELj64ELj16EiiEEvT3_S1_S1_S1_S1_21rocsparse_index_base_PKT2_PKS1_S2_PS3_ ; -- Begin function _ZN9rocsparseL46csr2bsr_nnz_wavefront_per_row_multipass_kernelILj256ELj64ELj16EiiEEvT3_S1_S1_S1_S1_21rocsparse_index_base_PKT2_PKS1_S2_PS3_
	.p2align	8
	.type	_ZN9rocsparseL46csr2bsr_nnz_wavefront_per_row_multipass_kernelILj256ELj64ELj16EiiEEvT3_S1_S1_S1_S1_21rocsparse_index_base_PKT2_PKS1_S2_PS3_,@function
_ZN9rocsparseL46csr2bsr_nnz_wavefront_per_row_multipass_kernelILj256ELj64ELj16EiiEEvT3_S1_S1_S1_S1_21rocsparse_index_base_PKT2_PKS1_S2_PS3_: ; @_ZN9rocsparseL46csr2bsr_nnz_wavefront_per_row_multipass_kernelILj256ELj64ELj16EiiEEvT3_S1_S1_S1_S1_21rocsparse_index_base_PKT2_PKS1_S2_PS3_
; %bb.0:
	s_clause 0x1
	s_load_b128 s[4:7], s[0:1], 0x8
	s_load_b32 s2, s[0:1], 0x0
	s_bfe_u32 s3, ttmp6, 0x4000c
	s_and_b32 s8, ttmp6, 15
	s_add_co_i32 s3, s3, 1
	s_getreg_b32 s9, hwreg(HW_REG_IB_STS2, 6, 4)
	s_mul_i32 s3, ttmp9, s3
	v_dual_mov_b32 v5, 0 :: v_dual_lshrrev_b32 v4, 6, v0
	s_add_co_i32 s8, s8, s3
	s_cmp_eq_u32 s9, 0
	v_bfe_u32 v6, v0, 2, 4
	s_cselect_b32 s3, ttmp9, s8
	s_load_b64 s[8:9], s[0:1], 0x18
	v_lshl_or_b32 v2, s3, 2, v4
	v_dual_lshlrev_b32 v3, 2, v4 :: v_dual_mov_b32 v17, 0
	ds_store_b32 v3, v5
	s_wait_kmcnt 0x0
	v_mad_u32 v1, v2, s6, v6
	s_wait_dscnt 0x0
	s_barrier_signal -1
	s_barrier_wait -1
	s_delay_alu instid0(VALU_DEP_1) | instskip(SKIP_2) | instid1(SALU_CYCLE_1)
	v_cmp_gt_i32_e32 vcc_lo, s2, v1
	v_cmp_gt_i32_e64 s2, s6, v6
	s_and_b32 s2, s2, vcc_lo
	s_and_saveexec_b32 s3, s2
	s_cbranch_execz .LBB5_2
; %bb.1:
	global_load_b32 v6, v1, s[8:9] scale_offset
	s_wait_loadcnt 0x0
	v_subrev_nc_u32_e32 v17, s7, v6
.LBB5_2:
	s_or_b32 exec_lo, exec_lo, s3
	s_and_saveexec_b32 s3, s2
	s_cbranch_execz .LBB5_4
; %bb.3:
	global_load_b32 v1, v1, s[8:9] offset:4 scale_offset
	s_wait_loadcnt 0x0
	v_subrev_nc_u32_e32 v5, s7, v1
.LBB5_4:
	s_or_b32 exec_lo, exec_lo, s3
	v_and_b32_e32 v6, 63, v0
	s_cmp_lt_i32 s5, 1
	s_delay_alu instid0(VALU_DEP_1)
	v_cmp_eq_u32_e32 vcc_lo, 0, v6
	s_cbranch_scc1 .LBB5_18
; %bb.5:
	v_mbcnt_lo_u32_b32 v1, -1, 0
	v_and_b32_e32 v7, 3, v0
	s_abs_i32 s12, s6
	s_load_b64 s[8:9], s[0:1], 0x20
	s_cvt_f32_u32 s3, s12
	v_xor_b32_e32 v8, 1, v1
	v_xor_b32_e32 v0, 2, v1
	;; [unrolled: 1-line block ×3, first 2 shown]
	v_bfrev_b32_e32 v15, 0.5
	s_mov_b32 s11, 0
	s_ashr_i32 s6, s6, 31
	v_cmp_gt_i32_e64 s2, 32, v0
	s_mov_b32 s13, s11
	v_dual_mov_b32 v16, 1 :: v_dual_mov_b32 v19, 0
	v_dual_cndmask_b32 v0, v1, v0, s2 :: v_dual_bitop2_b32 v9, 32, v1 bitop3:0x54
	v_cmp_gt_i32_e64 s2, 32, v8
	s_delay_alu instid0(VALU_DEP_1) | instskip(NEXT) | instid1(VALU_DEP_3)
	v_cndmask_b32_e64 v10, v1, v8, s2
	v_lshlrev_b32_e32 v8, 2, v0
	s_delay_alu instid0(VALU_DEP_4) | instskip(SKIP_1) | instid1(VALU_DEP_1)
	v_cmp_gt_i32_e64 s2, 32, v9
	v_rcp_iflag_f32_e32 v0, s3
	v_cndmask_b32_e64 v11, v1, v9, s2
	v_cmp_gt_i32_e64 s2, 32, v12
	v_lshlrev_b32_e32 v9, 2, v10
	s_delay_alu instid0(TRANS32_DEP_1) | instskip(SKIP_1) | instid1(VALU_DEP_4)
	v_readfirstlane_b32 s3, v0
	v_lshl_or_b32 v10, v1, 2, 12
	v_dual_cndmask_b32 v0, v1, v12, s2 :: v_dual_bitop2_b32 v14, 4, v1 bitop3:0x14
	s_mul_f32 s3, s3, 0x4f7ffffe
	s_delay_alu instid0(VALU_DEP_1) | instskip(SKIP_1) | instid1(VALU_DEP_1)
	v_dual_lshlrev_b32 v11, 2, v11 :: v_dual_lshlrev_b32 v12, 2, v0
	v_xor_b32_e32 v13, 8, v1
	v_cmp_gt_i32_e64 s2, 32, v13
	s_delay_alu instid0(VALU_DEP_1) | instskip(SKIP_1) | instid1(VALU_DEP_1)
	v_cndmask_b32_e64 v13, v1, v13, s2
	v_cmp_gt_i32_e64 s2, 32, v14
	v_cndmask_b32_e64 v1, v1, v14, s2
	s_cvt_u32_f32 s2, s3
	s_sub_co_i32 s3, 0, s12
	s_delay_alu instid0(SALU_CYCLE_2) | instskip(NEXT) | instid1(VALU_DEP_1)
	s_mul_i32 s3, s3, s2
	v_dual_mov_b32 v1, 0 :: v_dual_lshlrev_b32 v14, 2, v1
	v_lshlrev_b32_e32 v13, 2, v13
	s_mul_hi_u32 s3, s2, s3
	s_delay_alu instid0(SALU_CYCLE_1)
	s_add_co_i32 s10, s2, s3
	s_branch .LBB5_7
.LBB5_6:                                ;   in Loop: Header=BB5_7 Depth=1
	s_or_b32 exec_lo, exec_lo, s2
	ds_bpermute_b32 v0, v11, v18
	s_wait_dscnt 0x0
	v_min_i32_e32 v0, v0, v18
	ds_bpermute_b32 v18, v12, v0
	s_wait_dscnt 0x0
	v_min_i32_e32 v0, v18, v0
	ds_bpermute_b32 v18, v13, v0
	s_wait_dscnt 0x0
	v_min_i32_e32 v0, v18, v0
	ds_bpermute_b32 v18, v14, v0
	s_wait_dscnt 0x0
	v_min_i32_e32 v0, v18, v0
	ds_bpermute_b32 v18, v8, v0
	s_wait_dscnt 0x0
	v_min_i32_e32 v0, v18, v0
	ds_bpermute_b32 v18, v9, v0
	s_wait_dscnt 0x0
	v_min_i32_e32 v0, v18, v0
	ds_bpermute_b32 v19, v15, v0
	s_wait_dscnt 0x0
	v_cmp_le_i32_e64 s2, s5, v19
	s_or_b32 s13, s2, s13
	s_delay_alu instid0(SALU_CYCLE_1)
	s_and_not1_b32 exec_lo, exec_lo, s13
	s_cbranch_execz .LBB5_17
.LBB5_7:                                ; =>This Loop Header: Depth=1
                                        ;     Child Loop BB5_10 Depth 2
	v_dual_mov_b32 v18, s5 :: v_dual_add_nc_u32 v17, v17, v7
	v_mov_b32_e32 v20, v5
	s_mov_b32 s14, exec_lo
	ds_store_b8 v4, v1 offset:16
	s_wait_dscnt 0x0
	v_cmpx_lt_i32_e64 v17, v5
	s_cbranch_execz .LBB5_15
; %bb.8:                                ;   in Loop: Header=BB5_7 Depth=1
	v_dual_mov_b32 v18, s5 :: v_dual_mov_b32 v20, v5
	s_mov_b32 s15, 0
	s_branch .LBB5_10
.LBB5_9:                                ;   in Loop: Header=BB5_10 Depth=2
	s_or_b32 exec_lo, exec_lo, s3
	v_add_nc_u32_e32 v17, 4, v17
	s_xor_b32 s2, s2, -1
	s_delay_alu instid0(VALU_DEP_1) | instskip(SKIP_1) | instid1(SALU_CYCLE_1)
	v_cmp_ge_i32_e64 s3, v17, v5
	s_or_b32 s2, s2, s3
	s_and_b32 s2, exec_lo, s2
	s_delay_alu instid0(SALU_CYCLE_1) | instskip(NEXT) | instid1(SALU_CYCLE_1)
	s_or_b32 s15, s2, s15
	s_and_not1_b32 exec_lo, exec_lo, s15
	s_cbranch_execz .LBB5_14
.LBB5_10:                               ;   Parent Loop BB5_7 Depth=1
                                        ; =>  This Inner Loop Header: Depth=2
	s_wait_kmcnt 0x0
	global_load_b32 v0, v17, s[8:9] scale_offset
	s_wait_loadcnt 0x0
	v_subrev_nc_u32_e32 v21, s7, v0
	s_delay_alu instid0(VALU_DEP_1) | instskip(NEXT) | instid1(VALU_DEP_1)
	v_sub_nc_u32_e32 v0, 0, v21
	v_dual_ashrrev_i32 v21, 31, v21 :: v_dual_max_i32 v0, v21, v0
	s_delay_alu instid0(VALU_DEP_1) | instskip(NEXT) | instid1(VALU_DEP_1)
	v_mul_u64_e32 v[22:23], s[10:11], v[0:1]
	v_mul_lo_u32 v22, v23, s12
	s_delay_alu instid0(VALU_DEP_1) | instskip(NEXT) | instid1(VALU_DEP_1)
	v_dual_sub_nc_u32 v0, v0, v22 :: v_dual_add_nc_u32 v22, 1, v23
	v_subrev_nc_u32_e32 v24, s12, v0
	v_cmp_le_u32_e64 s2, s12, v0
	s_delay_alu instid0(VALU_DEP_1) | instskip(NEXT) | instid1(VALU_DEP_1)
	v_dual_cndmask_b32 v22, v23, v22, s2 :: v_dual_cndmask_b32 v0, v0, v24, s2
	v_add_nc_u32_e32 v23, 1, v22
	s_delay_alu instid0(VALU_DEP_2) | instskip(NEXT) | instid1(VALU_DEP_1)
	v_cmp_le_u32_e64 s2, s12, v0
	v_dual_cndmask_b32 v0, v22, v23, s2 :: v_dual_bitop2_b32 v21, s6, v21 bitop3:0x14
	s_delay_alu instid0(VALU_DEP_1) | instskip(NEXT) | instid1(VALU_DEP_1)
	v_xor_b32_e32 v0, v0, v21
	v_sub_nc_u32_e32 v21, v0, v21
	v_mov_b32_e32 v0, v20
	s_delay_alu instid0(VALU_DEP_2) | instskip(SKIP_3) | instid1(SALU_CYCLE_1)
	v_cmp_eq_u32_e64 s2, v21, v19
	v_cmp_ne_u32_e64 s3, v21, v19
	s_wait_xcnt 0x0
	s_and_saveexec_b32 s16, s3
	s_xor_b32 s3, exec_lo, s16
; %bb.11:                               ;   in Loop: Header=BB5_10 Depth=2
	v_min_i32_e32 v18, v21, v18
                                        ; implicit-def: $vgpr0
; %bb.12:                               ;   in Loop: Header=BB5_10 Depth=2
	s_or_saveexec_b32 s3, s3
	v_mov_b32_e32 v20, v17
	s_xor_b32 exec_lo, exec_lo, s3
	s_cbranch_execz .LBB5_9
; %bb.13:                               ;   in Loop: Header=BB5_10 Depth=2
	v_mov_b32_e32 v20, v0
	ds_store_b8 v4, v16 offset:16
	s_branch .LBB5_9
.LBB5_14:                               ;   in Loop: Header=BB5_7 Depth=1
	s_or_b32 exec_lo, exec_lo, s15
.LBB5_15:                               ;   in Loop: Header=BB5_7 Depth=1
	s_delay_alu instid0(SALU_CYCLE_1)
	s_or_b32 exec_lo, exec_lo, s14
	ds_bpermute_b32 v0, v8, v20
	s_wait_dscnt 0x0
	ds_load_u8 v19, v4 offset:16
	v_min_i32_e32 v0, v0, v20
	ds_bpermute_b32 v17, v9, v0
	s_wait_dscnt 0x0
	v_min_i32_e32 v0, v17, v0
	ds_bpermute_b32 v17, v10, v0
	v_and_b32_e32 v0, 1, v19
	s_delay_alu instid0(VALU_DEP_1) | instskip(SKIP_1) | instid1(SALU_CYCLE_1)
	v_cmp_eq_u32_e64 s2, 1, v0
	s_and_b32 s3, vcc_lo, s2
	s_and_saveexec_b32 s2, s3
	s_cbranch_execz .LBB5_6
; %bb.16:                               ;   in Loop: Header=BB5_7 Depth=1
	ds_load_b32 v0, v3
	s_wait_dscnt 0x0
	v_add_nc_u32_e32 v0, 1, v0
	ds_store_b32 v3, v0
	s_branch .LBB5_6
.LBB5_17:
	s_or_b32 exec_lo, exec_lo, s13
.LBB5_18:
	s_delay_alu instid0(SALU_CYCLE_1)
	s_mov_b32 s2, exec_lo
	v_cmpx_eq_u32_e32 0, v6
	s_cbranch_execz .LBB5_21
; %bb.19:
	s_clause 0x1
	s_load_b32 s5, s[0:1], 0x28
	s_load_b64 s[2:3], s[0:1], 0x30
	v_mov_b32_e32 v0, 0
	v_cmp_gt_u32_e32 vcc_lo, s4, v2
	s_wait_kmcnt 0x0
	v_mov_b32_e32 v1, s5
	global_store_b32 v0, v1, s[2:3]
	s_wait_xcnt 0x0
	s_and_b32 exec_lo, exec_lo, vcc_lo
	s_cbranch_execz .LBB5_21
; %bb.20:
	ds_load_b32 v0, v3
	s_wait_dscnt 0x0
	global_store_b32 v2, v0, s[2:3] offset:4 scale_offset
.LBB5_21:
	s_endpgm
	.section	.rodata,"a",@progbits
	.p2align	6, 0x0
	.amdhsa_kernel _ZN9rocsparseL46csr2bsr_nnz_wavefront_per_row_multipass_kernelILj256ELj64ELj16EiiEEvT3_S1_S1_S1_S1_21rocsparse_index_base_PKT2_PKS1_S2_PS3_
		.amdhsa_group_segment_fixed_size 20
		.amdhsa_private_segment_fixed_size 0
		.amdhsa_kernarg_size 56
		.amdhsa_user_sgpr_count 2
		.amdhsa_user_sgpr_dispatch_ptr 0
		.amdhsa_user_sgpr_queue_ptr 0
		.amdhsa_user_sgpr_kernarg_segment_ptr 1
		.amdhsa_user_sgpr_dispatch_id 0
		.amdhsa_user_sgpr_kernarg_preload_length 0
		.amdhsa_user_sgpr_kernarg_preload_offset 0
		.amdhsa_user_sgpr_private_segment_size 0
		.amdhsa_wavefront_size32 1
		.amdhsa_uses_dynamic_stack 0
		.amdhsa_enable_private_segment 0
		.amdhsa_system_sgpr_workgroup_id_x 1
		.amdhsa_system_sgpr_workgroup_id_y 0
		.amdhsa_system_sgpr_workgroup_id_z 0
		.amdhsa_system_sgpr_workgroup_info 0
		.amdhsa_system_vgpr_workitem_id 0
		.amdhsa_next_free_vgpr 25
		.amdhsa_next_free_sgpr 17
		.amdhsa_named_barrier_count 0
		.amdhsa_reserve_vcc 1
		.amdhsa_float_round_mode_32 0
		.amdhsa_float_round_mode_16_64 0
		.amdhsa_float_denorm_mode_32 3
		.amdhsa_float_denorm_mode_16_64 3
		.amdhsa_fp16_overflow 0
		.amdhsa_memory_ordered 1
		.amdhsa_forward_progress 1
		.amdhsa_inst_pref_size 10
		.amdhsa_round_robin_scheduling 0
		.amdhsa_exception_fp_ieee_invalid_op 0
		.amdhsa_exception_fp_denorm_src 0
		.amdhsa_exception_fp_ieee_div_zero 0
		.amdhsa_exception_fp_ieee_overflow 0
		.amdhsa_exception_fp_ieee_underflow 0
		.amdhsa_exception_fp_ieee_inexact 0
		.amdhsa_exception_int_div_zero 0
	.end_amdhsa_kernel
	.section	.text._ZN9rocsparseL46csr2bsr_nnz_wavefront_per_row_multipass_kernelILj256ELj64ELj16EiiEEvT3_S1_S1_S1_S1_21rocsparse_index_base_PKT2_PKS1_S2_PS3_,"axG",@progbits,_ZN9rocsparseL46csr2bsr_nnz_wavefront_per_row_multipass_kernelILj256ELj64ELj16EiiEEvT3_S1_S1_S1_S1_21rocsparse_index_base_PKT2_PKS1_S2_PS3_,comdat
.Lfunc_end5:
	.size	_ZN9rocsparseL46csr2bsr_nnz_wavefront_per_row_multipass_kernelILj256ELj64ELj16EiiEEvT3_S1_S1_S1_S1_21rocsparse_index_base_PKT2_PKS1_S2_PS3_, .Lfunc_end5-_ZN9rocsparseL46csr2bsr_nnz_wavefront_per_row_multipass_kernelILj256ELj64ELj16EiiEEvT3_S1_S1_S1_S1_21rocsparse_index_base_PKT2_PKS1_S2_PS3_
                                        ; -- End function
	.set _ZN9rocsparseL46csr2bsr_nnz_wavefront_per_row_multipass_kernelILj256ELj64ELj16EiiEEvT3_S1_S1_S1_S1_21rocsparse_index_base_PKT2_PKS1_S2_PS3_.num_vgpr, 25
	.set _ZN9rocsparseL46csr2bsr_nnz_wavefront_per_row_multipass_kernelILj256ELj64ELj16EiiEEvT3_S1_S1_S1_S1_21rocsparse_index_base_PKT2_PKS1_S2_PS3_.num_agpr, 0
	.set _ZN9rocsparseL46csr2bsr_nnz_wavefront_per_row_multipass_kernelILj256ELj64ELj16EiiEEvT3_S1_S1_S1_S1_21rocsparse_index_base_PKT2_PKS1_S2_PS3_.numbered_sgpr, 17
	.set _ZN9rocsparseL46csr2bsr_nnz_wavefront_per_row_multipass_kernelILj256ELj64ELj16EiiEEvT3_S1_S1_S1_S1_21rocsparse_index_base_PKT2_PKS1_S2_PS3_.num_named_barrier, 0
	.set _ZN9rocsparseL46csr2bsr_nnz_wavefront_per_row_multipass_kernelILj256ELj64ELj16EiiEEvT3_S1_S1_S1_S1_21rocsparse_index_base_PKT2_PKS1_S2_PS3_.private_seg_size, 0
	.set _ZN9rocsparseL46csr2bsr_nnz_wavefront_per_row_multipass_kernelILj256ELj64ELj16EiiEEvT3_S1_S1_S1_S1_21rocsparse_index_base_PKT2_PKS1_S2_PS3_.uses_vcc, 1
	.set _ZN9rocsparseL46csr2bsr_nnz_wavefront_per_row_multipass_kernelILj256ELj64ELj16EiiEEvT3_S1_S1_S1_S1_21rocsparse_index_base_PKT2_PKS1_S2_PS3_.uses_flat_scratch, 0
	.set _ZN9rocsparseL46csr2bsr_nnz_wavefront_per_row_multipass_kernelILj256ELj64ELj16EiiEEvT3_S1_S1_S1_S1_21rocsparse_index_base_PKT2_PKS1_S2_PS3_.has_dyn_sized_stack, 0
	.set _ZN9rocsparseL46csr2bsr_nnz_wavefront_per_row_multipass_kernelILj256ELj64ELj16EiiEEvT3_S1_S1_S1_S1_21rocsparse_index_base_PKT2_PKS1_S2_PS3_.has_recursion, 0
	.set _ZN9rocsparseL46csr2bsr_nnz_wavefront_per_row_multipass_kernelILj256ELj64ELj16EiiEEvT3_S1_S1_S1_S1_21rocsparse_index_base_PKT2_PKS1_S2_PS3_.has_indirect_call, 0
	.section	.AMDGPU.csdata,"",@progbits
; Kernel info:
; codeLenInByte = 1200
; TotalNumSgprs: 19
; NumVgprs: 25
; ScratchSize: 0
; MemoryBound: 0
; FloatMode: 240
; IeeeMode: 1
; LDSByteSize: 20 bytes/workgroup (compile time only)
; SGPRBlocks: 0
; VGPRBlocks: 1
; NumSGPRsForWavesPerEU: 19
; NumVGPRsForWavesPerEU: 25
; NamedBarCnt: 0
; Occupancy: 16
; WaveLimiterHint : 0
; COMPUTE_PGM_RSRC2:SCRATCH_EN: 0
; COMPUTE_PGM_RSRC2:USER_SGPR: 2
; COMPUTE_PGM_RSRC2:TRAP_HANDLER: 0
; COMPUTE_PGM_RSRC2:TGID_X_EN: 1
; COMPUTE_PGM_RSRC2:TGID_Y_EN: 0
; COMPUTE_PGM_RSRC2:TGID_Z_EN: 0
; COMPUTE_PGM_RSRC2:TIDIG_COMP_CNT: 0
	.section	.text._ZN9rocsparseL46csr2bsr_nnz_wavefront_per_row_multipass_kernelILj256ELj32ELj16EiiEEvT3_S1_S1_S1_S1_21rocsparse_index_base_PKT2_PKS1_S2_PS3_,"axG",@progbits,_ZN9rocsparseL46csr2bsr_nnz_wavefront_per_row_multipass_kernelILj256ELj32ELj16EiiEEvT3_S1_S1_S1_S1_21rocsparse_index_base_PKT2_PKS1_S2_PS3_,comdat
	.globl	_ZN9rocsparseL46csr2bsr_nnz_wavefront_per_row_multipass_kernelILj256ELj32ELj16EiiEEvT3_S1_S1_S1_S1_21rocsparse_index_base_PKT2_PKS1_S2_PS3_ ; -- Begin function _ZN9rocsparseL46csr2bsr_nnz_wavefront_per_row_multipass_kernelILj256ELj32ELj16EiiEEvT3_S1_S1_S1_S1_21rocsparse_index_base_PKT2_PKS1_S2_PS3_
	.p2align	8
	.type	_ZN9rocsparseL46csr2bsr_nnz_wavefront_per_row_multipass_kernelILj256ELj32ELj16EiiEEvT3_S1_S1_S1_S1_21rocsparse_index_base_PKT2_PKS1_S2_PS3_,@function
_ZN9rocsparseL46csr2bsr_nnz_wavefront_per_row_multipass_kernelILj256ELj32ELj16EiiEEvT3_S1_S1_S1_S1_21rocsparse_index_base_PKT2_PKS1_S2_PS3_: ; @_ZN9rocsparseL46csr2bsr_nnz_wavefront_per_row_multipass_kernelILj256ELj32ELj16EiiEEvT3_S1_S1_S1_S1_21rocsparse_index_base_PKT2_PKS1_S2_PS3_
; %bb.0:
	s_clause 0x1
	s_load_b128 s[4:7], s[0:1], 0x8
	s_load_b32 s2, s[0:1], 0x0
	s_bfe_u32 s3, ttmp6, 0x4000c
	s_and_b32 s8, ttmp6, 15
	s_add_co_i32 s3, s3, 1
	s_getreg_b32 s9, hwreg(HW_REG_IB_STS2, 6, 4)
	s_mul_i32 s3, ttmp9, s3
	v_dual_mov_b32 v5, 0 :: v_dual_lshrrev_b32 v4, 5, v0
	s_add_co_i32 s8, s8, s3
	s_cmp_eq_u32 s9, 0
	v_bfe_u32 v6, v0, 1, 4
	s_cselect_b32 s3, ttmp9, s8
	s_load_b64 s[8:9], s[0:1], 0x18
	v_lshl_or_b32 v2, s3, 3, v4
	v_dual_mov_b32 v16, 0 :: v_dual_lshlrev_b32 v3, 2, v4
	ds_store_b32 v3, v5
	s_wait_kmcnt 0x0
	v_mad_u32 v1, v2, s6, v6
	s_wait_dscnt 0x0
	s_barrier_signal -1
	s_barrier_wait -1
	s_delay_alu instid0(VALU_DEP_1) | instskip(SKIP_2) | instid1(SALU_CYCLE_1)
	v_cmp_gt_i32_e32 vcc_lo, s2, v1
	v_cmp_gt_i32_e64 s2, s6, v6
	s_and_b32 s2, s2, vcc_lo
	s_and_saveexec_b32 s3, s2
	s_cbranch_execz .LBB6_2
; %bb.1:
	global_load_b32 v6, v1, s[8:9] scale_offset
	s_wait_loadcnt 0x0
	v_subrev_nc_u32_e32 v16, s7, v6
.LBB6_2:
	s_or_b32 exec_lo, exec_lo, s3
	s_and_saveexec_b32 s3, s2
	s_cbranch_execz .LBB6_4
; %bb.3:
	global_load_b32 v1, v1, s[8:9] offset:4 scale_offset
	s_wait_loadcnt 0x0
	v_subrev_nc_u32_e32 v5, s7, v1
.LBB6_4:
	s_or_b32 exec_lo, exec_lo, s3
	v_and_b32_e32 v6, 31, v0
	s_cmp_lt_i32 s5, 1
	s_delay_alu instid0(VALU_DEP_1)
	v_cmp_eq_u32_e32 vcc_lo, 0, v6
	s_cbranch_scc1 .LBB6_18
; %bb.5:
	v_mbcnt_lo_u32_b32 v1, -1, 0
	v_and_b32_e32 v7, 1, v0
	s_abs_i32 s12, s6
	s_load_b64 s[8:9], s[0:1], 0x20
	s_cvt_f32_u32 s3, s12
	v_xor_b32_e32 v8, 16, v1
	v_xor_b32_e32 v0, 1, v1
	v_mov_b32_e32 v14, 0x7c
	v_rcp_iflag_f32_e32 v11, s3
	v_dual_mov_b32 v15, 1 :: v_dual_mov_b32 v18, 0
	s_delay_alu instid0(VALU_DEP_3) | instskip(SKIP_3) | instid1(TRANS32_DEP_1)
	v_cmp_gt_i32_e64 s2, 32, v0
	s_mov_b32 s11, 0
	s_ashr_i32 s6, s6, 31
	s_mov_b32 s13, s11
	v_readfirstlane_b32 s3, v11
	v_cndmask_b32_e64 v0, v1, v0, s2
	s_mul_f32 s3, s3, 0x4f7ffffe
	s_delay_alu instid0(VALU_DEP_1) | instskip(SKIP_1) | instid1(VALU_DEP_1)
	v_lshlrev_b32_e32 v9, 2, v0
	v_cmp_gt_i32_e64 s2, 32, v8
	v_dual_cndmask_b32 v10, v1, v8, s2 :: v_dual_bitop2_b32 v12, 8, v1 bitop3:0x14
	v_lshl_or_b32 v8, v1, 2, 4
	s_delay_alu instid0(VALU_DEP_2) | instskip(NEXT) | instid1(VALU_DEP_3)
	v_lshlrev_b32_e32 v10, 2, v10
	v_cmp_gt_i32_e64 s2, 32, v12
	s_delay_alu instid0(VALU_DEP_1) | instskip(NEXT) | instid1(VALU_DEP_1)
	v_dual_cndmask_b32 v11, v1, v12, s2 :: v_dual_bitop2_b32 v0, 4, v1 bitop3:0x14
	v_cmp_gt_i32_e64 s2, 32, v0
	s_delay_alu instid0(VALU_DEP_2) | instskip(NEXT) | instid1(VALU_DEP_2)
	v_dual_lshlrev_b32 v11, 2, v11 :: v_dual_bitop2_b32 v13, 2, v1 bitop3:0x14
	v_cndmask_b32_e64 v0, v1, v0, s2
	s_delay_alu instid0(VALU_DEP_2) | instskip(NEXT) | instid1(VALU_DEP_1)
	v_cmp_gt_i32_e64 s2, 32, v13
	v_cndmask_b32_e64 v1, v1, v13, s2
	s_cvt_u32_f32 s2, s3
	s_sub_co_i32 s3, 0, s12
	s_delay_alu instid0(VALU_DEP_1) | instskip(NEXT) | instid1(SALU_CYCLE_1)
	v_dual_lshlrev_b32 v12, 2, v0 :: v_dual_lshlrev_b32 v13, 2, v1
	s_mul_i32 s3, s3, s2
	v_mov_b32_e32 v1, 0
	s_mul_hi_u32 s3, s2, s3
	s_delay_alu instid0(SALU_CYCLE_1)
	s_add_co_i32 s10, s2, s3
	s_branch .LBB6_7
.LBB6_6:                                ;   in Loop: Header=BB6_7 Depth=1
	s_or_b32 exec_lo, exec_lo, s2
	ds_bpermute_b32 v0, v10, v17
	s_wait_dscnt 0x0
	v_min_i32_e32 v0, v0, v17
	ds_bpermute_b32 v17, v11, v0
	s_wait_dscnt 0x0
	v_min_i32_e32 v0, v17, v0
	;; [unrolled: 3-line block ×5, first 2 shown]
	ds_bpermute_b32 v18, v14, v0
	s_wait_dscnt 0x0
	v_cmp_le_i32_e64 s2, s5, v18
	s_or_b32 s13, s2, s13
	s_delay_alu instid0(SALU_CYCLE_1)
	s_and_not1_b32 exec_lo, exec_lo, s13
	s_cbranch_execz .LBB6_17
.LBB6_7:                                ; =>This Loop Header: Depth=1
                                        ;     Child Loop BB6_10 Depth 2
	v_dual_mov_b32 v17, s5 :: v_dual_add_nc_u32 v16, v16, v7
	v_mov_b32_e32 v19, v5
	s_mov_b32 s14, exec_lo
	ds_store_b8 v4, v1 offset:32
	s_wait_dscnt 0x0
	v_cmpx_lt_i32_e64 v16, v5
	s_cbranch_execz .LBB6_15
; %bb.8:                                ;   in Loop: Header=BB6_7 Depth=1
	v_dual_mov_b32 v17, s5 :: v_dual_mov_b32 v19, v5
	s_mov_b32 s15, 0
	s_branch .LBB6_10
.LBB6_9:                                ;   in Loop: Header=BB6_10 Depth=2
	s_or_b32 exec_lo, exec_lo, s3
	v_add_nc_u32_e32 v16, 2, v16
	s_xor_b32 s2, s2, -1
	s_delay_alu instid0(VALU_DEP_1) | instskip(SKIP_1) | instid1(SALU_CYCLE_1)
	v_cmp_ge_i32_e64 s3, v16, v5
	s_or_b32 s2, s2, s3
	s_and_b32 s2, exec_lo, s2
	s_delay_alu instid0(SALU_CYCLE_1) | instskip(NEXT) | instid1(SALU_CYCLE_1)
	s_or_b32 s15, s2, s15
	s_and_not1_b32 exec_lo, exec_lo, s15
	s_cbranch_execz .LBB6_14
.LBB6_10:                               ;   Parent Loop BB6_7 Depth=1
                                        ; =>  This Inner Loop Header: Depth=2
	s_wait_kmcnt 0x0
	global_load_b32 v0, v16, s[8:9] scale_offset
	s_wait_loadcnt 0x0
	v_subrev_nc_u32_e32 v22, s7, v0
	s_delay_alu instid0(VALU_DEP_1) | instskip(NEXT) | instid1(VALU_DEP_1)
	v_sub_nc_u32_e32 v0, 0, v22
	v_max_i32_e32 v0, v22, v0
	s_delay_alu instid0(VALU_DEP_1) | instskip(NEXT) | instid1(VALU_DEP_1)
	v_mul_u64_e32 v[20:21], s[10:11], v[0:1]
	v_mul_lo_u32 v20, v21, s12
	s_delay_alu instid0(VALU_DEP_1) | instskip(NEXT) | instid1(VALU_DEP_1)
	v_dual_sub_nc_u32 v0, v0, v20 :: v_dual_add_nc_u32 v20, 1, v21
	v_cmp_le_u32_e64 s2, s12, v0
	s_delay_alu instid0(VALU_DEP_1) | instskip(SKIP_1) | instid1(VALU_DEP_2)
	v_cndmask_b32_e64 v20, v21, v20, s2
	v_subrev_nc_u32_e32 v23, s12, v0
	v_dual_ashrrev_i32 v21, 31, v22 :: v_dual_add_nc_u32 v22, 1, v20
	s_delay_alu instid0(VALU_DEP_2) | instskip(NEXT) | instid1(VALU_DEP_1)
	v_cndmask_b32_e64 v0, v0, v23, s2
	v_cmp_le_u32_e64 s2, s12, v0
	s_delay_alu instid0(VALU_DEP_1) | instskip(NEXT) | instid1(VALU_DEP_1)
	v_dual_cndmask_b32 v0, v20, v22, s2 :: v_dual_bitop2_b32 v21, s6, v21 bitop3:0x14
	v_xor_b32_e32 v0, v0, v21
	s_delay_alu instid0(VALU_DEP_1) | instskip(NEXT) | instid1(VALU_DEP_1)
	v_dual_sub_nc_u32 v20, v0, v21 :: v_dual_mov_b32 v0, v19
	v_cmp_eq_u32_e64 s2, v20, v18
	v_cmp_ne_u32_e64 s3, v20, v18
	s_wait_xcnt 0x0
	s_and_saveexec_b32 s16, s3
	s_delay_alu instid0(SALU_CYCLE_1)
	s_xor_b32 s3, exec_lo, s16
; %bb.11:                               ;   in Loop: Header=BB6_10 Depth=2
	v_min_i32_e32 v17, v20, v17
                                        ; implicit-def: $vgpr0
; %bb.12:                               ;   in Loop: Header=BB6_10 Depth=2
	s_or_saveexec_b32 s3, s3
	v_mov_b32_e32 v19, v16
	s_xor_b32 exec_lo, exec_lo, s3
	s_cbranch_execz .LBB6_9
; %bb.13:                               ;   in Loop: Header=BB6_10 Depth=2
	v_mov_b32_e32 v19, v0
	ds_store_b8 v4, v15 offset:32
	s_branch .LBB6_9
.LBB6_14:                               ;   in Loop: Header=BB6_7 Depth=1
	s_or_b32 exec_lo, exec_lo, s15
.LBB6_15:                               ;   in Loop: Header=BB6_7 Depth=1
	s_delay_alu instid0(SALU_CYCLE_1)
	s_or_b32 exec_lo, exec_lo, s14
	ds_bpermute_b32 v0, v9, v19
	s_wait_dscnt 0x0
	ds_load_u8 v18, v4 offset:32
	v_min_i32_e32 v0, v0, v19
	ds_bpermute_b32 v16, v8, v0
	s_wait_dscnt 0x1
	v_and_b32_e32 v0, 1, v18
	s_delay_alu instid0(VALU_DEP_1) | instskip(SKIP_1) | instid1(SALU_CYCLE_1)
	v_cmp_eq_u32_e64 s2, 1, v0
	s_and_b32 s3, vcc_lo, s2
	s_and_saveexec_b32 s2, s3
	s_cbranch_execz .LBB6_6
; %bb.16:                               ;   in Loop: Header=BB6_7 Depth=1
	ds_load_b32 v0, v3
	s_wait_dscnt 0x0
	v_add_nc_u32_e32 v0, 1, v0
	ds_store_b32 v3, v0
	s_branch .LBB6_6
.LBB6_17:
	s_or_b32 exec_lo, exec_lo, s13
.LBB6_18:
	s_delay_alu instid0(SALU_CYCLE_1)
	s_mov_b32 s2, exec_lo
	v_cmpx_eq_u32_e32 0, v6
	s_cbranch_execz .LBB6_21
; %bb.19:
	s_clause 0x1
	s_load_b32 s5, s[0:1], 0x28
	s_load_b64 s[2:3], s[0:1], 0x30
	v_mov_b32_e32 v0, 0
	v_cmp_gt_u32_e32 vcc_lo, s4, v2
	s_wait_kmcnt 0x0
	v_mov_b32_e32 v1, s5
	global_store_b32 v0, v1, s[2:3]
	s_wait_xcnt 0x0
	s_and_b32 exec_lo, exec_lo, vcc_lo
	s_cbranch_execz .LBB6_21
; %bb.20:
	ds_load_b32 v0, v3
	s_wait_dscnt 0x0
	global_store_b32 v2, v0, s[2:3] offset:4 scale_offset
.LBB6_21:
	s_endpgm
	.section	.rodata,"a",@progbits
	.p2align	6, 0x0
	.amdhsa_kernel _ZN9rocsparseL46csr2bsr_nnz_wavefront_per_row_multipass_kernelILj256ELj32ELj16EiiEEvT3_S1_S1_S1_S1_21rocsparse_index_base_PKT2_PKS1_S2_PS3_
		.amdhsa_group_segment_fixed_size 40
		.amdhsa_private_segment_fixed_size 0
		.amdhsa_kernarg_size 56
		.amdhsa_user_sgpr_count 2
		.amdhsa_user_sgpr_dispatch_ptr 0
		.amdhsa_user_sgpr_queue_ptr 0
		.amdhsa_user_sgpr_kernarg_segment_ptr 1
		.amdhsa_user_sgpr_dispatch_id 0
		.amdhsa_user_sgpr_kernarg_preload_length 0
		.amdhsa_user_sgpr_kernarg_preload_offset 0
		.amdhsa_user_sgpr_private_segment_size 0
		.amdhsa_wavefront_size32 1
		.amdhsa_uses_dynamic_stack 0
		.amdhsa_enable_private_segment 0
		.amdhsa_system_sgpr_workgroup_id_x 1
		.amdhsa_system_sgpr_workgroup_id_y 0
		.amdhsa_system_sgpr_workgroup_id_z 0
		.amdhsa_system_sgpr_workgroup_info 0
		.amdhsa_system_vgpr_workitem_id 0
		.amdhsa_next_free_vgpr 24
		.amdhsa_next_free_sgpr 17
		.amdhsa_named_barrier_count 0
		.amdhsa_reserve_vcc 1
		.amdhsa_float_round_mode_32 0
		.amdhsa_float_round_mode_16_64 0
		.amdhsa_float_denorm_mode_32 3
		.amdhsa_float_denorm_mode_16_64 3
		.amdhsa_fp16_overflow 0
		.amdhsa_memory_ordered 1
		.amdhsa_forward_progress 1
		.amdhsa_inst_pref_size 10
		.amdhsa_round_robin_scheduling 0
		.amdhsa_exception_fp_ieee_invalid_op 0
		.amdhsa_exception_fp_denorm_src 0
		.amdhsa_exception_fp_ieee_div_zero 0
		.amdhsa_exception_fp_ieee_overflow 0
		.amdhsa_exception_fp_ieee_underflow 0
		.amdhsa_exception_fp_ieee_inexact 0
		.amdhsa_exception_int_div_zero 0
	.end_amdhsa_kernel
	.section	.text._ZN9rocsparseL46csr2bsr_nnz_wavefront_per_row_multipass_kernelILj256ELj32ELj16EiiEEvT3_S1_S1_S1_S1_21rocsparse_index_base_PKT2_PKS1_S2_PS3_,"axG",@progbits,_ZN9rocsparseL46csr2bsr_nnz_wavefront_per_row_multipass_kernelILj256ELj32ELj16EiiEEvT3_S1_S1_S1_S1_21rocsparse_index_base_PKT2_PKS1_S2_PS3_,comdat
.Lfunc_end6:
	.size	_ZN9rocsparseL46csr2bsr_nnz_wavefront_per_row_multipass_kernelILj256ELj32ELj16EiiEEvT3_S1_S1_S1_S1_21rocsparse_index_base_PKT2_PKS1_S2_PS3_, .Lfunc_end6-_ZN9rocsparseL46csr2bsr_nnz_wavefront_per_row_multipass_kernelILj256ELj32ELj16EiiEEvT3_S1_S1_S1_S1_21rocsparse_index_base_PKT2_PKS1_S2_PS3_
                                        ; -- End function
	.set _ZN9rocsparseL46csr2bsr_nnz_wavefront_per_row_multipass_kernelILj256ELj32ELj16EiiEEvT3_S1_S1_S1_S1_21rocsparse_index_base_PKT2_PKS1_S2_PS3_.num_vgpr, 24
	.set _ZN9rocsparseL46csr2bsr_nnz_wavefront_per_row_multipass_kernelILj256ELj32ELj16EiiEEvT3_S1_S1_S1_S1_21rocsparse_index_base_PKT2_PKS1_S2_PS3_.num_agpr, 0
	.set _ZN9rocsparseL46csr2bsr_nnz_wavefront_per_row_multipass_kernelILj256ELj32ELj16EiiEEvT3_S1_S1_S1_S1_21rocsparse_index_base_PKT2_PKS1_S2_PS3_.numbered_sgpr, 17
	.set _ZN9rocsparseL46csr2bsr_nnz_wavefront_per_row_multipass_kernelILj256ELj32ELj16EiiEEvT3_S1_S1_S1_S1_21rocsparse_index_base_PKT2_PKS1_S2_PS3_.num_named_barrier, 0
	.set _ZN9rocsparseL46csr2bsr_nnz_wavefront_per_row_multipass_kernelILj256ELj32ELj16EiiEEvT3_S1_S1_S1_S1_21rocsparse_index_base_PKT2_PKS1_S2_PS3_.private_seg_size, 0
	.set _ZN9rocsparseL46csr2bsr_nnz_wavefront_per_row_multipass_kernelILj256ELj32ELj16EiiEEvT3_S1_S1_S1_S1_21rocsparse_index_base_PKT2_PKS1_S2_PS3_.uses_vcc, 1
	.set _ZN9rocsparseL46csr2bsr_nnz_wavefront_per_row_multipass_kernelILj256ELj32ELj16EiiEEvT3_S1_S1_S1_S1_21rocsparse_index_base_PKT2_PKS1_S2_PS3_.uses_flat_scratch, 0
	.set _ZN9rocsparseL46csr2bsr_nnz_wavefront_per_row_multipass_kernelILj256ELj32ELj16EiiEEvT3_S1_S1_S1_S1_21rocsparse_index_base_PKT2_PKS1_S2_PS3_.has_dyn_sized_stack, 0
	.set _ZN9rocsparseL46csr2bsr_nnz_wavefront_per_row_multipass_kernelILj256ELj32ELj16EiiEEvT3_S1_S1_S1_S1_21rocsparse_index_base_PKT2_PKS1_S2_PS3_.has_recursion, 0
	.set _ZN9rocsparseL46csr2bsr_nnz_wavefront_per_row_multipass_kernelILj256ELj32ELj16EiiEEvT3_S1_S1_S1_S1_21rocsparse_index_base_PKT2_PKS1_S2_PS3_.has_indirect_call, 0
	.section	.AMDGPU.csdata,"",@progbits
; Kernel info:
; codeLenInByte = 1168
; TotalNumSgprs: 19
; NumVgprs: 24
; ScratchSize: 0
; MemoryBound: 0
; FloatMode: 240
; IeeeMode: 1
; LDSByteSize: 40 bytes/workgroup (compile time only)
; SGPRBlocks: 0
; VGPRBlocks: 1
; NumSGPRsForWavesPerEU: 19
; NumVGPRsForWavesPerEU: 24
; NamedBarCnt: 0
; Occupancy: 16
; WaveLimiterHint : 0
; COMPUTE_PGM_RSRC2:SCRATCH_EN: 0
; COMPUTE_PGM_RSRC2:USER_SGPR: 2
; COMPUTE_PGM_RSRC2:TRAP_HANDLER: 0
; COMPUTE_PGM_RSRC2:TGID_X_EN: 1
; COMPUTE_PGM_RSRC2:TGID_Y_EN: 0
; COMPUTE_PGM_RSRC2:TGID_Z_EN: 0
; COMPUTE_PGM_RSRC2:TIDIG_COMP_CNT: 0
	.section	.text._ZN9rocsparseL42csr2bsr_nnz_block_per_row_multipass_kernelILj256ELj32EiiEEvT2_S1_S1_S1_S1_21rocsparse_index_base_PKT1_PKS1_S2_PS3_,"axG",@progbits,_ZN9rocsparseL42csr2bsr_nnz_block_per_row_multipass_kernelILj256ELj32EiiEEvT2_S1_S1_S1_S1_21rocsparse_index_base_PKT1_PKS1_S2_PS3_,comdat
	.globl	_ZN9rocsparseL42csr2bsr_nnz_block_per_row_multipass_kernelILj256ELj32EiiEEvT2_S1_S1_S1_S1_21rocsparse_index_base_PKT1_PKS1_S2_PS3_ ; -- Begin function _ZN9rocsparseL42csr2bsr_nnz_block_per_row_multipass_kernelILj256ELj32EiiEEvT2_S1_S1_S1_S1_21rocsparse_index_base_PKT1_PKS1_S2_PS3_
	.p2align	8
	.type	_ZN9rocsparseL42csr2bsr_nnz_block_per_row_multipass_kernelILj256ELj32EiiEEvT2_S1_S1_S1_S1_21rocsparse_index_base_PKT1_PKS1_S2_PS3_,@function
_ZN9rocsparseL42csr2bsr_nnz_block_per_row_multipass_kernelILj256ELj32EiiEEvT2_S1_S1_S1_S1_21rocsparse_index_base_PKT1_PKS1_S2_PS3_: ; @_ZN9rocsparseL42csr2bsr_nnz_block_per_row_multipass_kernelILj256ELj32EiiEEvT2_S1_S1_S1_S1_21rocsparse_index_base_PKT1_PKS1_S2_PS3_
; %bb.0:
	s_clause 0x1
	s_load_b96 s[12:14], s[0:1], 0xc
	s_load_b32 s2, s[0:1], 0x0
	s_bfe_u32 s3, ttmp6, 0x4000c
	s_and_b32 s4, ttmp6, 15
	s_add_co_i32 s3, s3, 1
	s_getreg_b32 s5, hwreg(HW_REG_IB_STS2, 6, 4)
	s_mul_i32 s3, ttmp9, s3
	v_dual_mov_b32 v1, 0 :: v_dual_lshrrev_b32 v2, 3, v0
	s_add_co_i32 s4, s4, s3
	s_cmp_eq_u32 s5, 0
	s_cselect_b32 s11, ttmp9, s4
	s_load_b64 s[4:5], s[0:1], 0x18
	ds_store_b32 v1, v1 offset:1024
	s_wait_dscnt 0x0
	s_barrier_signal -1
	s_barrier_wait -1
	s_wait_kmcnt 0x0
	v_mad_u32 v3, s13, s11, v2
	s_delay_alu instid0(VALU_DEP_1) | instskip(SKIP_3) | instid1(SALU_CYCLE_1)
	v_cmp_gt_i32_e32 vcc_lo, s2, v3
	v_cmp_gt_i32_e64 s2, s13, v2
	v_mov_b32_e32 v2, 0
	s_and_b32 s2, s2, vcc_lo
	s_and_saveexec_b32 s3, s2
	s_cbranch_execnz .LBB7_3
; %bb.1:
	s_or_b32 exec_lo, exec_lo, s3
	s_and_saveexec_b32 s3, s2
	s_cbranch_execnz .LBB7_4
.LBB7_2:
	s_or_b32 exec_lo, exec_lo, s3
	v_cmp_eq_u32_e64 s2, 0, v0
	s_cmp_lt_i32 s12, 1
	s_cbranch_scc0 .LBB7_5
	s_branch .LBB7_33
.LBB7_3:
	global_load_b32 v2, v3, s[4:5] scale_offset
	s_wait_loadcnt 0x0
	v_subrev_nc_u32_e32 v2, s14, v2
	s_or_b32 exec_lo, exec_lo, s3
	s_and_saveexec_b32 s3, s2
	s_cbranch_execz .LBB7_2
.LBB7_4:
	global_load_b32 v1, v3, s[4:5] offset:4 scale_offset
	s_wait_loadcnt 0x0
	v_subrev_nc_u32_e32 v1, s14, v1
	s_or_b32 exec_lo, exec_lo, s3
	v_cmp_eq_u32_e64 s2, 0, v0
	s_cmp_lt_i32 s12, 1
	s_cbranch_scc1 .LBB7_33
.LBB7_5:
	v_mbcnt_lo_u32_b32 v3, -1, 0
	s_abs_i32 s15, s13
	s_load_b64 s[16:17], s[0:1], 0x20
	s_cvt_f32_u32 s3, s15
	s_sub_co_i32 s18, 0, s15
	v_xor_b32_e32 v5, 2, v3
	v_xor_b32_e32 v4, 4, v3
	v_rcp_iflag_f32_e32 v9, s3
	v_xor_b32_e32 v6, 1, v3
	v_cmp_gt_u32_e64 s3, 0x80, v0
	v_cmp_gt_u32_e64 s4, 64, v0
	v_cmp_gt_i32_e32 vcc_lo, 32, v4
	v_cmp_gt_u32_e64 s6, 16, v0
	v_cmp_gt_u32_e64 s7, 8, v0
	v_readfirstlane_b32 s5, v9
	v_lshlrev_b32_e32 v9, 2, v0
	v_cndmask_b32_e32 v7, v3, v4, vcc_lo
	v_cmp_gt_i32_e32 vcc_lo, 32, v5
	v_cmp_gt_u32_e64 s9, 2, v0
	s_mul_f32 s8, s5, 0x4f7ffffe
	v_cmp_gt_u32_e64 s5, 32, v0
	s_mov_b32 s19, 0
	v_cndmask_b32_e32 v8, v3, v5, vcc_lo
	v_cmp_gt_i32_e32 vcc_lo, 32, v6
	s_cvt_u32_f32 s10, s8
	v_dual_lshlrev_b32 v5, 2, v7 :: v_dual_bitop2_b32 v4, 7, v0 bitop3:0x40
	v_cmp_gt_u32_e64 s8, 4, v0
	v_cndmask_b32_e32 v10, v3, v6, vcc_lo
	s_mul_i32 s18, s18, s10
	v_lshlrev_b32_e32 v6, 2, v8
	v_lshl_or_b32 v8, v3, 2, 28
	s_delay_alu instid0(VALU_DEP_3)
	v_dual_mov_b32 v3, 0 :: v_dual_lshlrev_b32 v7, 2, v10
	v_dual_mov_b32 v10, 1 :: v_dual_mov_b32 v12, 0
	s_mul_hi_u32 s18, s10, s18
	s_ashr_i32 s13, s13, 31
	s_add_co_i32 s18, s10, s18
	s_branch .LBB7_7
.LBB7_6:                                ;   in Loop: Header=BB7_7 Depth=1
	s_or_b32 exec_lo, exec_lo, s10
	s_wait_dscnt 0x0
	s_barrier_signal -1
	s_barrier_wait -1
	ds_load_b32 v12, v3
	s_wait_dscnt 0x0
	s_barrier_signal -1
	s_barrier_wait -1
	v_cmp_gt_i32_e32 vcc_lo, s12, v12
	s_cbranch_vccz .LBB7_33
.LBB7_7:                                ; =>This Loop Header: Depth=1
                                        ;     Child Loop BB7_10 Depth 2
	v_dual_add_nc_u32 v13, v2, v4 :: v_dual_mov_b32 v11, s12
	v_mov_b32_e32 v14, v1
	s_mov_b32 s20, exec_lo
	ds_store_b8 v3, v3 offset:1028
	s_wait_dscnt 0x0
	s_barrier_signal -1
	s_barrier_wait -1
	v_cmpx_lt_i32_e64 v13, v1
	s_cbranch_execz .LBB7_15
; %bb.8:                                ;   in Loop: Header=BB7_7 Depth=1
	v_dual_mov_b32 v11, s12 :: v_dual_mov_b32 v14, v1
	s_mov_b32 s21, 0
	s_branch .LBB7_10
.LBB7_9:                                ;   in Loop: Header=BB7_10 Depth=2
	s_or_b32 exec_lo, exec_lo, s10
	v_add_nc_u32_e32 v13, 8, v13
	s_xor_b32 s22, vcc_lo, -1
	s_delay_alu instid0(VALU_DEP_1) | instskip(SKIP_1) | instid1(SALU_CYCLE_1)
	v_cmp_ge_i32_e64 s10, v13, v1
	s_or_b32 s10, s22, s10
	s_and_b32 s10, exec_lo, s10
	s_delay_alu instid0(SALU_CYCLE_1) | instskip(NEXT) | instid1(SALU_CYCLE_1)
	s_or_b32 s21, s10, s21
	s_and_not1_b32 exec_lo, exec_lo, s21
	s_cbranch_execz .LBB7_14
.LBB7_10:                               ;   Parent Loop BB7_7 Depth=1
                                        ; =>  This Inner Loop Header: Depth=2
	s_wait_kmcnt 0x0
	global_load_b32 v2, v13, s[16:17] scale_offset
	s_wait_loadcnt 0x0
	v_subrev_nc_u32_e32 v15, s14, v2
	s_delay_alu instid0(VALU_DEP_1) | instskip(NEXT) | instid1(VALU_DEP_1)
	v_sub_nc_u32_e32 v2, 0, v15
	v_dual_ashrrev_i32 v15, 31, v15 :: v_dual_max_i32 v2, v15, v2
	s_delay_alu instid0(VALU_DEP_1) | instskip(NEXT) | instid1(VALU_DEP_1)
	v_mul_u64_e32 v[16:17], s[18:19], v[2:3]
	v_mul_lo_u32 v16, v17, s15
	s_delay_alu instid0(VALU_DEP_1) | instskip(NEXT) | instid1(VALU_DEP_1)
	v_dual_sub_nc_u32 v2, v2, v16 :: v_dual_add_nc_u32 v16, 1, v17
	v_subrev_nc_u32_e32 v18, s15, v2
	v_cmp_le_u32_e32 vcc_lo, s15, v2
	s_delay_alu instid0(VALU_DEP_2) | instskip(NEXT) | instid1(VALU_DEP_1)
	v_dual_cndmask_b32 v16, v17, v16, vcc_lo :: v_dual_cndmask_b32 v2, v2, v18, vcc_lo
	v_add_nc_u32_e32 v17, 1, v16
	s_delay_alu instid0(VALU_DEP_2) | instskip(NEXT) | instid1(VALU_DEP_2)
	v_cmp_le_u32_e32 vcc_lo, s15, v2
	v_dual_cndmask_b32 v2, v16, v17, vcc_lo :: v_dual_bitop2_b32 v15, s13, v15 bitop3:0x14
	s_delay_alu instid0(VALU_DEP_1) | instskip(NEXT) | instid1(VALU_DEP_1)
	v_xor_b32_e32 v2, v2, v15
	v_sub_nc_u32_e32 v15, v2, v15
	v_mov_b32_e32 v2, v14
	s_delay_alu instid0(VALU_DEP_2) | instskip(SKIP_3) | instid1(SALU_CYCLE_1)
	v_cmp_ne_u32_e64 s10, v15, v12
	v_cmp_eq_u32_e32 vcc_lo, v15, v12
	s_wait_xcnt 0x0
	s_and_saveexec_b32 s22, s10
	s_xor_b32 s10, exec_lo, s22
; %bb.11:                               ;   in Loop: Header=BB7_10 Depth=2
	v_min_i32_e32 v11, v15, v11
                                        ; implicit-def: $vgpr2
; %bb.12:                               ;   in Loop: Header=BB7_10 Depth=2
	s_or_saveexec_b32 s10, s10
	v_mov_b32_e32 v14, v13
	s_xor_b32 exec_lo, exec_lo, s10
	s_cbranch_execz .LBB7_9
; %bb.13:                               ;   in Loop: Header=BB7_10 Depth=2
	v_mov_b32_e32 v14, v2
	ds_store_b8 v3, v10 offset:1028
	s_branch .LBB7_9
.LBB7_14:                               ;   in Loop: Header=BB7_7 Depth=1
	s_or_b32 exec_lo, exec_lo, s21
.LBB7_15:                               ;   in Loop: Header=BB7_7 Depth=1
	s_delay_alu instid0(SALU_CYCLE_1)
	s_or_b32 exec_lo, exec_lo, s20
	ds_bpermute_b32 v2, v5, v14
	s_wait_dscnt 0x0
	s_barrier_signal -1
	s_barrier_wait -1
	ds_load_u8 v13, v3 offset:1028
	v_min_i32_e32 v2, v2, v14
	s_wait_dscnt 0x0
	v_readfirstlane_b32 s10, v13
	ds_bpermute_b32 v12, v6, v2
	s_bitcmp1_b32 s10, 0
	s_cselect_b32 s10, -1, 0
	s_delay_alu instid0(SALU_CYCLE_1)
	s_and_b32 s20, s2, s10
	s_wait_dscnt 0x0
	v_min_i32_e32 v2, v12, v2
	ds_bpermute_b32 v12, v7, v2
	s_wait_dscnt 0x0
	v_min_i32_e32 v2, v12, v2
	ds_bpermute_b32 v2, v8, v2
	s_and_saveexec_b32 s10, s20
	s_cbranch_execz .LBB7_17
; %bb.16:                               ;   in Loop: Header=BB7_7 Depth=1
	ds_load_b32 v12, v3 offset:1024
	s_wait_dscnt 0x0
	v_add_nc_u32_e32 v12, 1, v12
	ds_store_b32 v3, v12 offset:1024
.LBB7_17:                               ;   in Loop: Header=BB7_7 Depth=1
	s_or_b32 exec_lo, exec_lo, s10
	ds_store_b32 v9, v11
	s_wait_dscnt 0x0
	s_barrier_signal -1
	s_barrier_wait -1
	s_and_saveexec_b32 s10, s3
	s_cbranch_execz .LBB7_19
; %bb.18:                               ;   in Loop: Header=BB7_7 Depth=1
	ds_load_2addr_stride64_b32 v[12:13], v9 offset1:2
	s_wait_dscnt 0x0
	v_min_i32_e32 v11, v13, v12
	ds_store_b32 v9, v11
.LBB7_19:                               ;   in Loop: Header=BB7_7 Depth=1
	s_or_b32 exec_lo, exec_lo, s10
	s_wait_dscnt 0x0
	s_barrier_signal -1
	s_barrier_wait -1
	s_and_saveexec_b32 s10, s4
	s_cbranch_execz .LBB7_21
; %bb.20:                               ;   in Loop: Header=BB7_7 Depth=1
	ds_load_2addr_stride64_b32 v[12:13], v9 offset1:1
	s_wait_dscnt 0x0
	v_min_i32_e32 v11, v13, v12
	ds_store_b32 v9, v11
.LBB7_21:                               ;   in Loop: Header=BB7_7 Depth=1
	s_or_b32 exec_lo, exec_lo, s10
	s_wait_dscnt 0x0
	s_barrier_signal -1
	s_barrier_wait -1
	s_and_saveexec_b32 s10, s5
	s_cbranch_execz .LBB7_23
; %bb.22:                               ;   in Loop: Header=BB7_7 Depth=1
	ds_load_2addr_b32 v[12:13], v9 offset1:32
	s_wait_dscnt 0x0
	v_min_i32_e32 v11, v13, v12
	ds_store_b32 v9, v11
.LBB7_23:                               ;   in Loop: Header=BB7_7 Depth=1
	s_or_b32 exec_lo, exec_lo, s10
	s_wait_dscnt 0x0
	s_barrier_signal -1
	s_barrier_wait -1
	s_and_saveexec_b32 s10, s6
	s_cbranch_execz .LBB7_25
; %bb.24:                               ;   in Loop: Header=BB7_7 Depth=1
	ds_load_2addr_b32 v[12:13], v9 offset1:16
	s_wait_dscnt 0x0
	v_min_i32_e32 v11, v13, v12
	ds_store_b32 v9, v11
.LBB7_25:                               ;   in Loop: Header=BB7_7 Depth=1
	;; [unrolled: 12-line block ×5, first 2 shown]
	s_or_b32 exec_lo, exec_lo, s10
	s_wait_dscnt 0x0
	s_barrier_signal -1
	s_barrier_wait -1
	s_and_saveexec_b32 s10, s2
	s_cbranch_execz .LBB7_6
; %bb.32:                               ;   in Loop: Header=BB7_7 Depth=1
	ds_load_b64 v[12:13], v3
	s_wait_dscnt 0x0
	v_min_i32_e32 v11, v13, v12
	ds_store_b32 v3, v11
	s_branch .LBB7_6
.LBB7_33:
	s_mov_b32 s2, exec_lo
	v_cmpx_eq_u32_e32 0, v0
	s_cbranch_execz .LBB7_35
; %bb.34:
	s_load_b32 s2, s[0:1], 0x28
	v_mov_b32_e32 v0, 0
	s_wait_xcnt 0x0
	s_load_b64 s[0:1], s[0:1], 0x30
	s_wait_kmcnt 0x0
	v_dual_mov_b32 v3, s11 :: v_dual_mov_b32 v2, s2
	ds_load_b32 v1, v0 offset:1024
	global_store_b32 v0, v2, s[0:1]
	s_wait_dscnt 0x0
	global_store_b32 v3, v1, s[0:1] offset:4 scale_offset
.LBB7_35:
	s_endpgm
	.section	.rodata,"a",@progbits
	.p2align	6, 0x0
	.amdhsa_kernel _ZN9rocsparseL42csr2bsr_nnz_block_per_row_multipass_kernelILj256ELj32EiiEEvT2_S1_S1_S1_S1_21rocsparse_index_base_PKT1_PKS1_S2_PS3_
		.amdhsa_group_segment_fixed_size 1032
		.amdhsa_private_segment_fixed_size 0
		.amdhsa_kernarg_size 56
		.amdhsa_user_sgpr_count 2
		.amdhsa_user_sgpr_dispatch_ptr 0
		.amdhsa_user_sgpr_queue_ptr 0
		.amdhsa_user_sgpr_kernarg_segment_ptr 1
		.amdhsa_user_sgpr_dispatch_id 0
		.amdhsa_user_sgpr_kernarg_preload_length 0
		.amdhsa_user_sgpr_kernarg_preload_offset 0
		.amdhsa_user_sgpr_private_segment_size 0
		.amdhsa_wavefront_size32 1
		.amdhsa_uses_dynamic_stack 0
		.amdhsa_enable_private_segment 0
		.amdhsa_system_sgpr_workgroup_id_x 1
		.amdhsa_system_sgpr_workgroup_id_y 0
		.amdhsa_system_sgpr_workgroup_id_z 0
		.amdhsa_system_sgpr_workgroup_info 0
		.amdhsa_system_vgpr_workitem_id 0
		.amdhsa_next_free_vgpr 19
		.amdhsa_next_free_sgpr 23
		.amdhsa_named_barrier_count 0
		.amdhsa_reserve_vcc 1
		.amdhsa_float_round_mode_32 0
		.amdhsa_float_round_mode_16_64 0
		.amdhsa_float_denorm_mode_32 3
		.amdhsa_float_denorm_mode_16_64 3
		.amdhsa_fp16_overflow 0
		.amdhsa_memory_ordered 1
		.amdhsa_forward_progress 1
		.amdhsa_inst_pref_size 12
		.amdhsa_round_robin_scheduling 0
		.amdhsa_exception_fp_ieee_invalid_op 0
		.amdhsa_exception_fp_denorm_src 0
		.amdhsa_exception_fp_ieee_div_zero 0
		.amdhsa_exception_fp_ieee_overflow 0
		.amdhsa_exception_fp_ieee_underflow 0
		.amdhsa_exception_fp_ieee_inexact 0
		.amdhsa_exception_int_div_zero 0
	.end_amdhsa_kernel
	.section	.text._ZN9rocsparseL42csr2bsr_nnz_block_per_row_multipass_kernelILj256ELj32EiiEEvT2_S1_S1_S1_S1_21rocsparse_index_base_PKT1_PKS1_S2_PS3_,"axG",@progbits,_ZN9rocsparseL42csr2bsr_nnz_block_per_row_multipass_kernelILj256ELj32EiiEEvT2_S1_S1_S1_S1_21rocsparse_index_base_PKT1_PKS1_S2_PS3_,comdat
.Lfunc_end7:
	.size	_ZN9rocsparseL42csr2bsr_nnz_block_per_row_multipass_kernelILj256ELj32EiiEEvT2_S1_S1_S1_S1_21rocsparse_index_base_PKT1_PKS1_S2_PS3_, .Lfunc_end7-_ZN9rocsparseL42csr2bsr_nnz_block_per_row_multipass_kernelILj256ELj32EiiEEvT2_S1_S1_S1_S1_21rocsparse_index_base_PKT1_PKS1_S2_PS3_
                                        ; -- End function
	.set _ZN9rocsparseL42csr2bsr_nnz_block_per_row_multipass_kernelILj256ELj32EiiEEvT2_S1_S1_S1_S1_21rocsparse_index_base_PKT1_PKS1_S2_PS3_.num_vgpr, 19
	.set _ZN9rocsparseL42csr2bsr_nnz_block_per_row_multipass_kernelILj256ELj32EiiEEvT2_S1_S1_S1_S1_21rocsparse_index_base_PKT1_PKS1_S2_PS3_.num_agpr, 0
	.set _ZN9rocsparseL42csr2bsr_nnz_block_per_row_multipass_kernelILj256ELj32EiiEEvT2_S1_S1_S1_S1_21rocsparse_index_base_PKT1_PKS1_S2_PS3_.numbered_sgpr, 23
	.set _ZN9rocsparseL42csr2bsr_nnz_block_per_row_multipass_kernelILj256ELj32EiiEEvT2_S1_S1_S1_S1_21rocsparse_index_base_PKT1_PKS1_S2_PS3_.num_named_barrier, 0
	.set _ZN9rocsparseL42csr2bsr_nnz_block_per_row_multipass_kernelILj256ELj32EiiEEvT2_S1_S1_S1_S1_21rocsparse_index_base_PKT1_PKS1_S2_PS3_.private_seg_size, 0
	.set _ZN9rocsparseL42csr2bsr_nnz_block_per_row_multipass_kernelILj256ELj32EiiEEvT2_S1_S1_S1_S1_21rocsparse_index_base_PKT1_PKS1_S2_PS3_.uses_vcc, 1
	.set _ZN9rocsparseL42csr2bsr_nnz_block_per_row_multipass_kernelILj256ELj32EiiEEvT2_S1_S1_S1_S1_21rocsparse_index_base_PKT1_PKS1_S2_PS3_.uses_flat_scratch, 0
	.set _ZN9rocsparseL42csr2bsr_nnz_block_per_row_multipass_kernelILj256ELj32EiiEEvT2_S1_S1_S1_S1_21rocsparse_index_base_PKT1_PKS1_S2_PS3_.has_dyn_sized_stack, 0
	.set _ZN9rocsparseL42csr2bsr_nnz_block_per_row_multipass_kernelILj256ELj32EiiEEvT2_S1_S1_S1_S1_21rocsparse_index_base_PKT1_PKS1_S2_PS3_.has_recursion, 0
	.set _ZN9rocsparseL42csr2bsr_nnz_block_per_row_multipass_kernelILj256ELj32EiiEEvT2_S1_S1_S1_S1_21rocsparse_index_base_PKT1_PKS1_S2_PS3_.has_indirect_call, 0
	.section	.AMDGPU.csdata,"",@progbits
; Kernel info:
; codeLenInByte = 1456
; TotalNumSgprs: 25
; NumVgprs: 19
; ScratchSize: 0
; MemoryBound: 0
; FloatMode: 240
; IeeeMode: 1
; LDSByteSize: 1032 bytes/workgroup (compile time only)
; SGPRBlocks: 0
; VGPRBlocks: 1
; NumSGPRsForWavesPerEU: 25
; NumVGPRsForWavesPerEU: 19
; NamedBarCnt: 0
; Occupancy: 16
; WaveLimiterHint : 0
; COMPUTE_PGM_RSRC2:SCRATCH_EN: 0
; COMPUTE_PGM_RSRC2:USER_SGPR: 2
; COMPUTE_PGM_RSRC2:TRAP_HANDLER: 0
; COMPUTE_PGM_RSRC2:TGID_X_EN: 1
; COMPUTE_PGM_RSRC2:TGID_Y_EN: 0
; COMPUTE_PGM_RSRC2:TGID_Z_EN: 0
; COMPUTE_PGM_RSRC2:TIDIG_COMP_CNT: 0
	.section	.text._ZN9rocsparseL42csr2bsr_nnz_block_per_row_multipass_kernelILj256ELj64EiiEEvT2_S1_S1_S1_S1_21rocsparse_index_base_PKT1_PKS1_S2_PS3_,"axG",@progbits,_ZN9rocsparseL42csr2bsr_nnz_block_per_row_multipass_kernelILj256ELj64EiiEEvT2_S1_S1_S1_S1_21rocsparse_index_base_PKT1_PKS1_S2_PS3_,comdat
	.globl	_ZN9rocsparseL42csr2bsr_nnz_block_per_row_multipass_kernelILj256ELj64EiiEEvT2_S1_S1_S1_S1_21rocsparse_index_base_PKT1_PKS1_S2_PS3_ ; -- Begin function _ZN9rocsparseL42csr2bsr_nnz_block_per_row_multipass_kernelILj256ELj64EiiEEvT2_S1_S1_S1_S1_21rocsparse_index_base_PKT1_PKS1_S2_PS3_
	.p2align	8
	.type	_ZN9rocsparseL42csr2bsr_nnz_block_per_row_multipass_kernelILj256ELj64EiiEEvT2_S1_S1_S1_S1_21rocsparse_index_base_PKT1_PKS1_S2_PS3_,@function
_ZN9rocsparseL42csr2bsr_nnz_block_per_row_multipass_kernelILj256ELj64EiiEEvT2_S1_S1_S1_S1_21rocsparse_index_base_PKT1_PKS1_S2_PS3_: ; @_ZN9rocsparseL42csr2bsr_nnz_block_per_row_multipass_kernelILj256ELj64EiiEEvT2_S1_S1_S1_S1_21rocsparse_index_base_PKT1_PKS1_S2_PS3_
; %bb.0:
	s_clause 0x1
	s_load_b96 s[12:14], s[0:1], 0xc
	s_load_b32 s2, s[0:1], 0x0
	s_bfe_u32 s3, ttmp6, 0x4000c
	s_and_b32 s4, ttmp6, 15
	s_add_co_i32 s3, s3, 1
	s_getreg_b32 s5, hwreg(HW_REG_IB_STS2, 6, 4)
	s_mul_i32 s3, ttmp9, s3
	v_dual_mov_b32 v1, 0 :: v_dual_lshrrev_b32 v2, 2, v0
	s_add_co_i32 s4, s4, s3
	s_cmp_eq_u32 s5, 0
	s_cselect_b32 s11, ttmp9, s4
	s_load_b64 s[4:5], s[0:1], 0x18
	ds_store_b32 v1, v1 offset:1024
	s_wait_dscnt 0x0
	s_barrier_signal -1
	s_barrier_wait -1
	s_wait_kmcnt 0x0
	v_mad_u32 v3, s13, s11, v2
	s_delay_alu instid0(VALU_DEP_1) | instskip(SKIP_3) | instid1(SALU_CYCLE_1)
	v_cmp_gt_i32_e32 vcc_lo, s2, v3
	v_cmp_gt_i32_e64 s2, s13, v2
	v_mov_b32_e32 v2, 0
	s_and_b32 s2, s2, vcc_lo
	s_and_saveexec_b32 s3, s2
	s_cbranch_execnz .LBB8_3
; %bb.1:
	s_or_b32 exec_lo, exec_lo, s3
	s_and_saveexec_b32 s3, s2
	s_cbranch_execnz .LBB8_4
.LBB8_2:
	s_or_b32 exec_lo, exec_lo, s3
	v_cmp_eq_u32_e64 s2, 0, v0
	s_cmp_lt_i32 s12, 1
	s_cbranch_scc0 .LBB8_5
	s_branch .LBB8_33
.LBB8_3:
	global_load_b32 v2, v3, s[4:5] scale_offset
	s_wait_loadcnt 0x0
	v_subrev_nc_u32_e32 v2, s14, v2
	s_or_b32 exec_lo, exec_lo, s3
	s_and_saveexec_b32 s3, s2
	s_cbranch_execz .LBB8_2
.LBB8_4:
	global_load_b32 v1, v3, s[4:5] offset:4 scale_offset
	s_wait_loadcnt 0x0
	v_subrev_nc_u32_e32 v1, s14, v1
	s_or_b32 exec_lo, exec_lo, s3
	v_cmp_eq_u32_e64 s2, 0, v0
	s_cmp_lt_i32 s12, 1
	s_cbranch_scc1 .LBB8_33
.LBB8_5:
	s_abs_i32 s15, s13
	v_mbcnt_lo_u32_b32 v3, -1, 0
	s_cvt_f32_u32 s3, s15
	s_load_b64 s[16:17], s[0:1], 0x20
	s_sub_co_i32 s18, 0, s15
	v_cmp_gt_u32_e64 s4, 64, v0
	v_rcp_iflag_f32_e32 v6, s3
	v_xor_b32_e32 v5, 1, v3
	v_xor_b32_e32 v4, 2, v3
	v_cmp_gt_u32_e64 s3, 0x80, v0
	v_cmp_gt_u32_e64 s6, 16, v0
	;; [unrolled: 1-line block ×4, first 2 shown]
	v_cmp_gt_i32_e32 vcc_lo, 32, v4
	v_readfirstlane_b32 s5, v6
	v_mov_b32_e32 v11, 0
	s_mov_b32 s19, 0
	s_ashr_i32 s13, s13, 31
	v_cndmask_b32_e32 v7, v3, v4, vcc_lo
	v_cmp_gt_i32_e32 vcc_lo, 32, v5
	s_mul_f32 s8, s5, 0x4f7ffffe
	v_and_b32_e32 v4, 3, v0
	v_cmp_gt_u32_e64 s5, 32, v0
	v_dual_mov_b32 v9, 1 :: v_dual_cndmask_b32 v8, v3, v5
	s_cvt_u32_f32 s10, s8
	v_lshlrev_b32_e32 v5, 2, v7
	v_lshl_or_b32 v7, v3, 2, 12
	v_cmp_gt_u32_e64 s8, 4, v0
	s_mul_i32 s18, s18, s10
	v_dual_mov_b32 v3, 0 :: v_dual_lshlrev_b32 v6, 2, v8
	v_lshlrev_b32_e32 v8, 2, v0
	s_mul_hi_u32 s18, s10, s18
	s_delay_alu instid0(SALU_CYCLE_1)
	s_add_co_i32 s18, s10, s18
	s_branch .LBB8_7
.LBB8_6:                                ;   in Loop: Header=BB8_7 Depth=1
	s_or_b32 exec_lo, exec_lo, s10
	s_wait_dscnt 0x0
	s_barrier_signal -1
	s_barrier_wait -1
	ds_load_b32 v11, v3
	s_wait_dscnt 0x0
	s_barrier_signal -1
	s_barrier_wait -1
	v_cmp_gt_i32_e32 vcc_lo, s12, v11
	s_cbranch_vccz .LBB8_33
.LBB8_7:                                ; =>This Loop Header: Depth=1
                                        ;     Child Loop BB8_10 Depth 2
	v_dual_add_nc_u32 v12, v2, v4 :: v_dual_mov_b32 v10, s12
	v_mov_b32_e32 v13, v1
	s_mov_b32 s20, exec_lo
	ds_store_b8 v3, v3 offset:1028
	s_wait_dscnt 0x0
	s_barrier_signal -1
	s_barrier_wait -1
	v_cmpx_lt_i32_e64 v12, v1
	s_cbranch_execz .LBB8_15
; %bb.8:                                ;   in Loop: Header=BB8_7 Depth=1
	v_dual_mov_b32 v10, s12 :: v_dual_mov_b32 v13, v1
	s_mov_b32 s21, 0
	s_branch .LBB8_10
.LBB8_9:                                ;   in Loop: Header=BB8_10 Depth=2
	s_or_b32 exec_lo, exec_lo, s10
	v_add_nc_u32_e32 v12, 4, v12
	s_xor_b32 s22, vcc_lo, -1
	s_delay_alu instid0(VALU_DEP_1) | instskip(SKIP_1) | instid1(SALU_CYCLE_1)
	v_cmp_ge_i32_e64 s10, v12, v1
	s_or_b32 s10, s22, s10
	s_and_b32 s10, exec_lo, s10
	s_delay_alu instid0(SALU_CYCLE_1) | instskip(NEXT) | instid1(SALU_CYCLE_1)
	s_or_b32 s21, s10, s21
	s_and_not1_b32 exec_lo, exec_lo, s21
	s_cbranch_execz .LBB8_14
.LBB8_10:                               ;   Parent Loop BB8_7 Depth=1
                                        ; =>  This Inner Loop Header: Depth=2
	s_wait_kmcnt 0x0
	global_load_b32 v2, v12, s[16:17] scale_offset
	s_wait_loadcnt 0x0
	v_subrev_nc_u32_e32 v16, s14, v2
	s_delay_alu instid0(VALU_DEP_1) | instskip(NEXT) | instid1(VALU_DEP_1)
	v_sub_nc_u32_e32 v2, 0, v16
	v_max_i32_e32 v2, v16, v2
	s_delay_alu instid0(VALU_DEP_1) | instskip(NEXT) | instid1(VALU_DEP_1)
	v_mul_u64_e32 v[14:15], s[18:19], v[2:3]
	v_mul_lo_u32 v14, v15, s15
	s_delay_alu instid0(VALU_DEP_1) | instskip(NEXT) | instid1(VALU_DEP_1)
	v_dual_sub_nc_u32 v2, v2, v14 :: v_dual_add_nc_u32 v14, 1, v15
	v_cmp_le_u32_e32 vcc_lo, s15, v2
	s_delay_alu instid0(VALU_DEP_2) | instskip(SKIP_1) | instid1(VALU_DEP_2)
	v_cndmask_b32_e32 v14, v15, v14, vcc_lo
	v_subrev_nc_u32_e32 v17, s15, v2
	v_dual_ashrrev_i32 v15, 31, v16 :: v_dual_add_nc_u32 v16, 1, v14
	s_delay_alu instid0(VALU_DEP_2) | instskip(NEXT) | instid1(VALU_DEP_1)
	v_cndmask_b32_e32 v2, v2, v17, vcc_lo
	v_cmp_le_u32_e32 vcc_lo, s15, v2
	s_delay_alu instid0(VALU_DEP_3) | instskip(NEXT) | instid1(VALU_DEP_1)
	v_dual_cndmask_b32 v2, v14, v16, vcc_lo :: v_dual_bitop2_b32 v15, s13, v15 bitop3:0x14
	v_xor_b32_e32 v2, v2, v15
	s_delay_alu instid0(VALU_DEP_1) | instskip(NEXT) | instid1(VALU_DEP_1)
	v_dual_sub_nc_u32 v14, v2, v15 :: v_dual_mov_b32 v2, v13
	v_cmp_ne_u32_e64 s10, v14, v11
	v_cmp_eq_u32_e32 vcc_lo, v14, v11
	s_wait_xcnt 0x0
	s_and_saveexec_b32 s22, s10
	s_delay_alu instid0(SALU_CYCLE_1)
	s_xor_b32 s10, exec_lo, s22
; %bb.11:                               ;   in Loop: Header=BB8_10 Depth=2
	v_min_i32_e32 v10, v14, v10
                                        ; implicit-def: $vgpr2
; %bb.12:                               ;   in Loop: Header=BB8_10 Depth=2
	s_or_saveexec_b32 s10, s10
	v_mov_b32_e32 v13, v12
	s_xor_b32 exec_lo, exec_lo, s10
	s_cbranch_execz .LBB8_9
; %bb.13:                               ;   in Loop: Header=BB8_10 Depth=2
	v_mov_b32_e32 v13, v2
	ds_store_b8 v3, v9 offset:1028
	s_branch .LBB8_9
.LBB8_14:                               ;   in Loop: Header=BB8_7 Depth=1
	s_or_b32 exec_lo, exec_lo, s21
.LBB8_15:                               ;   in Loop: Header=BB8_7 Depth=1
	s_delay_alu instid0(SALU_CYCLE_1)
	s_or_b32 exec_lo, exec_lo, s20
	ds_bpermute_b32 v2, v5, v13
	s_wait_dscnt 0x0
	s_barrier_signal -1
	s_barrier_wait -1
	ds_load_u8 v12, v3 offset:1028
	v_min_i32_e32 v2, v2, v13
	s_wait_dscnt 0x0
	v_readfirstlane_b32 s10, v12
	ds_bpermute_b32 v11, v6, v2
	s_bitcmp1_b32 s10, 0
	s_cselect_b32 s10, -1, 0
	s_delay_alu instid0(SALU_CYCLE_1)
	s_and_b32 s20, s2, s10
	s_wait_dscnt 0x0
	v_min_i32_e32 v2, v11, v2
	ds_bpermute_b32 v2, v7, v2
	s_and_saveexec_b32 s10, s20
	s_cbranch_execz .LBB8_17
; %bb.16:                               ;   in Loop: Header=BB8_7 Depth=1
	ds_load_b32 v11, v3 offset:1024
	s_wait_dscnt 0x0
	v_add_nc_u32_e32 v11, 1, v11
	ds_store_b32 v3, v11 offset:1024
.LBB8_17:                               ;   in Loop: Header=BB8_7 Depth=1
	s_or_b32 exec_lo, exec_lo, s10
	ds_store_b32 v8, v10
	s_wait_dscnt 0x0
	s_barrier_signal -1
	s_barrier_wait -1
	s_and_saveexec_b32 s10, s3
	s_cbranch_execz .LBB8_19
; %bb.18:                               ;   in Loop: Header=BB8_7 Depth=1
	ds_load_2addr_stride64_b32 v[10:11], v8 offset1:2
	s_wait_dscnt 0x0
	v_min_i32_e32 v10, v11, v10
	ds_store_b32 v8, v10
.LBB8_19:                               ;   in Loop: Header=BB8_7 Depth=1
	s_or_b32 exec_lo, exec_lo, s10
	s_wait_dscnt 0x0
	s_barrier_signal -1
	s_barrier_wait -1
	s_and_saveexec_b32 s10, s4
	s_cbranch_execz .LBB8_21
; %bb.20:                               ;   in Loop: Header=BB8_7 Depth=1
	ds_load_2addr_stride64_b32 v[10:11], v8 offset1:1
	s_wait_dscnt 0x0
	v_min_i32_e32 v10, v11, v10
	ds_store_b32 v8, v10
.LBB8_21:                               ;   in Loop: Header=BB8_7 Depth=1
	s_or_b32 exec_lo, exec_lo, s10
	s_wait_dscnt 0x0
	s_barrier_signal -1
	s_barrier_wait -1
	s_and_saveexec_b32 s10, s5
	s_cbranch_execz .LBB8_23
; %bb.22:                               ;   in Loop: Header=BB8_7 Depth=1
	ds_load_2addr_b32 v[10:11], v8 offset1:32
	s_wait_dscnt 0x0
	v_min_i32_e32 v10, v11, v10
	ds_store_b32 v8, v10
.LBB8_23:                               ;   in Loop: Header=BB8_7 Depth=1
	s_or_b32 exec_lo, exec_lo, s10
	s_wait_dscnt 0x0
	s_barrier_signal -1
	s_barrier_wait -1
	s_and_saveexec_b32 s10, s6
	s_cbranch_execz .LBB8_25
; %bb.24:                               ;   in Loop: Header=BB8_7 Depth=1
	ds_load_2addr_b32 v[10:11], v8 offset1:16
	s_wait_dscnt 0x0
	v_min_i32_e32 v10, v11, v10
	ds_store_b32 v8, v10
.LBB8_25:                               ;   in Loop: Header=BB8_7 Depth=1
	;; [unrolled: 12-line block ×5, first 2 shown]
	s_or_b32 exec_lo, exec_lo, s10
	s_wait_dscnt 0x0
	s_barrier_signal -1
	s_barrier_wait -1
	s_and_saveexec_b32 s10, s2
	s_cbranch_execz .LBB8_6
; %bb.32:                               ;   in Loop: Header=BB8_7 Depth=1
	ds_load_b64 v[10:11], v3
	s_wait_dscnt 0x0
	v_min_i32_e32 v10, v11, v10
	ds_store_b32 v3, v10
	s_branch .LBB8_6
.LBB8_33:
	s_mov_b32 s2, exec_lo
	v_cmpx_eq_u32_e32 0, v0
	s_cbranch_execz .LBB8_35
; %bb.34:
	s_load_b32 s2, s[0:1], 0x28
	v_mov_b32_e32 v0, 0
	s_wait_xcnt 0x0
	s_load_b64 s[0:1], s[0:1], 0x30
	s_wait_kmcnt 0x0
	v_dual_mov_b32 v3, s11 :: v_dual_mov_b32 v2, s2
	ds_load_b32 v1, v0 offset:1024
	global_store_b32 v0, v2, s[0:1]
	s_wait_dscnt 0x0
	global_store_b32 v3, v1, s[0:1] offset:4 scale_offset
.LBB8_35:
	s_endpgm
	.section	.rodata,"a",@progbits
	.p2align	6, 0x0
	.amdhsa_kernel _ZN9rocsparseL42csr2bsr_nnz_block_per_row_multipass_kernelILj256ELj64EiiEEvT2_S1_S1_S1_S1_21rocsparse_index_base_PKT1_PKS1_S2_PS3_
		.amdhsa_group_segment_fixed_size 1032
		.amdhsa_private_segment_fixed_size 0
		.amdhsa_kernarg_size 56
		.amdhsa_user_sgpr_count 2
		.amdhsa_user_sgpr_dispatch_ptr 0
		.amdhsa_user_sgpr_queue_ptr 0
		.amdhsa_user_sgpr_kernarg_segment_ptr 1
		.amdhsa_user_sgpr_dispatch_id 0
		.amdhsa_user_sgpr_kernarg_preload_length 0
		.amdhsa_user_sgpr_kernarg_preload_offset 0
		.amdhsa_user_sgpr_private_segment_size 0
		.amdhsa_wavefront_size32 1
		.amdhsa_uses_dynamic_stack 0
		.amdhsa_enable_private_segment 0
		.amdhsa_system_sgpr_workgroup_id_x 1
		.amdhsa_system_sgpr_workgroup_id_y 0
		.amdhsa_system_sgpr_workgroup_id_z 0
		.amdhsa_system_sgpr_workgroup_info 0
		.amdhsa_system_vgpr_workitem_id 0
		.amdhsa_next_free_vgpr 18
		.amdhsa_next_free_sgpr 23
		.amdhsa_named_barrier_count 0
		.amdhsa_reserve_vcc 1
		.amdhsa_float_round_mode_32 0
		.amdhsa_float_round_mode_16_64 0
		.amdhsa_float_denorm_mode_32 3
		.amdhsa_float_denorm_mode_16_64 3
		.amdhsa_fp16_overflow 0
		.amdhsa_memory_ordered 1
		.amdhsa_forward_progress 1
		.amdhsa_inst_pref_size 12
		.amdhsa_round_robin_scheduling 0
		.amdhsa_exception_fp_ieee_invalid_op 0
		.amdhsa_exception_fp_denorm_src 0
		.amdhsa_exception_fp_ieee_div_zero 0
		.amdhsa_exception_fp_ieee_overflow 0
		.amdhsa_exception_fp_ieee_underflow 0
		.amdhsa_exception_fp_ieee_inexact 0
		.amdhsa_exception_int_div_zero 0
	.end_amdhsa_kernel
	.section	.text._ZN9rocsparseL42csr2bsr_nnz_block_per_row_multipass_kernelILj256ELj64EiiEEvT2_S1_S1_S1_S1_21rocsparse_index_base_PKT1_PKS1_S2_PS3_,"axG",@progbits,_ZN9rocsparseL42csr2bsr_nnz_block_per_row_multipass_kernelILj256ELj64EiiEEvT2_S1_S1_S1_S1_21rocsparse_index_base_PKT1_PKS1_S2_PS3_,comdat
.Lfunc_end8:
	.size	_ZN9rocsparseL42csr2bsr_nnz_block_per_row_multipass_kernelILj256ELj64EiiEEvT2_S1_S1_S1_S1_21rocsparse_index_base_PKT1_PKS1_S2_PS3_, .Lfunc_end8-_ZN9rocsparseL42csr2bsr_nnz_block_per_row_multipass_kernelILj256ELj64EiiEEvT2_S1_S1_S1_S1_21rocsparse_index_base_PKT1_PKS1_S2_PS3_
                                        ; -- End function
	.set _ZN9rocsparseL42csr2bsr_nnz_block_per_row_multipass_kernelILj256ELj64EiiEEvT2_S1_S1_S1_S1_21rocsparse_index_base_PKT1_PKS1_S2_PS3_.num_vgpr, 18
	.set _ZN9rocsparseL42csr2bsr_nnz_block_per_row_multipass_kernelILj256ELj64EiiEEvT2_S1_S1_S1_S1_21rocsparse_index_base_PKT1_PKS1_S2_PS3_.num_agpr, 0
	.set _ZN9rocsparseL42csr2bsr_nnz_block_per_row_multipass_kernelILj256ELj64EiiEEvT2_S1_S1_S1_S1_21rocsparse_index_base_PKT1_PKS1_S2_PS3_.numbered_sgpr, 23
	.set _ZN9rocsparseL42csr2bsr_nnz_block_per_row_multipass_kernelILj256ELj64EiiEEvT2_S1_S1_S1_S1_21rocsparse_index_base_PKT1_PKS1_S2_PS3_.num_named_barrier, 0
	.set _ZN9rocsparseL42csr2bsr_nnz_block_per_row_multipass_kernelILj256ELj64EiiEEvT2_S1_S1_S1_S1_21rocsparse_index_base_PKT1_PKS1_S2_PS3_.private_seg_size, 0
	.set _ZN9rocsparseL42csr2bsr_nnz_block_per_row_multipass_kernelILj256ELj64EiiEEvT2_S1_S1_S1_S1_21rocsparse_index_base_PKT1_PKS1_S2_PS3_.uses_vcc, 1
	.set _ZN9rocsparseL42csr2bsr_nnz_block_per_row_multipass_kernelILj256ELj64EiiEEvT2_S1_S1_S1_S1_21rocsparse_index_base_PKT1_PKS1_S2_PS3_.uses_flat_scratch, 0
	.set _ZN9rocsparseL42csr2bsr_nnz_block_per_row_multipass_kernelILj256ELj64EiiEEvT2_S1_S1_S1_S1_21rocsparse_index_base_PKT1_PKS1_S2_PS3_.has_dyn_sized_stack, 0
	.set _ZN9rocsparseL42csr2bsr_nnz_block_per_row_multipass_kernelILj256ELj64EiiEEvT2_S1_S1_S1_S1_21rocsparse_index_base_PKT1_PKS1_S2_PS3_.has_recursion, 0
	.set _ZN9rocsparseL42csr2bsr_nnz_block_per_row_multipass_kernelILj256ELj64EiiEEvT2_S1_S1_S1_S1_21rocsparse_index_base_PKT1_PKS1_S2_PS3_.has_indirect_call, 0
	.section	.AMDGPU.csdata,"",@progbits
; Kernel info:
; codeLenInByte = 1416
; TotalNumSgprs: 25
; NumVgprs: 18
; ScratchSize: 0
; MemoryBound: 0
; FloatMode: 240
; IeeeMode: 1
; LDSByteSize: 1032 bytes/workgroup (compile time only)
; SGPRBlocks: 0
; VGPRBlocks: 1
; NumSGPRsForWavesPerEU: 25
; NumVGPRsForWavesPerEU: 18
; NamedBarCnt: 0
; Occupancy: 16
; WaveLimiterHint : 0
; COMPUTE_PGM_RSRC2:SCRATCH_EN: 0
; COMPUTE_PGM_RSRC2:USER_SGPR: 2
; COMPUTE_PGM_RSRC2:TRAP_HANDLER: 0
; COMPUTE_PGM_RSRC2:TGID_X_EN: 1
; COMPUTE_PGM_RSRC2:TGID_Y_EN: 0
; COMPUTE_PGM_RSRC2:TGID_Z_EN: 0
; COMPUTE_PGM_RSRC2:TIDIG_COMP_CNT: 0
	.section	.text._ZN9rocsparseL25csr2bsr_nnz_65_inf_kernelILj32EiiEEvT1_S1_S1_S1_S1_S1_21rocsparse_index_base_PKT0_PKS1_S2_PS3_S8_,"axG",@progbits,_ZN9rocsparseL25csr2bsr_nnz_65_inf_kernelILj32EiiEEvT1_S1_S1_S1_S1_S1_21rocsparse_index_base_PKT0_PKS1_S2_PS3_S8_,comdat
	.globl	_ZN9rocsparseL25csr2bsr_nnz_65_inf_kernelILj32EiiEEvT1_S1_S1_S1_S1_S1_21rocsparse_index_base_PKT0_PKS1_S2_PS3_S8_ ; -- Begin function _ZN9rocsparseL25csr2bsr_nnz_65_inf_kernelILj32EiiEEvT1_S1_S1_S1_S1_S1_21rocsparse_index_base_PKT0_PKS1_S2_PS3_S8_
	.p2align	8
	.type	_ZN9rocsparseL25csr2bsr_nnz_65_inf_kernelILj32EiiEEvT1_S1_S1_S1_S1_S1_21rocsparse_index_base_PKT0_PKS1_S2_PS3_S8_,@function
_ZN9rocsparseL25csr2bsr_nnz_65_inf_kernelILj32EiiEEvT1_S1_S1_S1_S1_S1_21rocsparse_index_base_PKT0_PKS1_S2_PS3_S8_: ; @_ZN9rocsparseL25csr2bsr_nnz_65_inf_kernelILj32EiiEEvT1_S1_S1_S1_S1_S1_21rocsparse_index_base_PKT0_PKS1_S2_PS3_S8_
; %bb.0:
	s_clause 0x1
	s_load_b128 s[4:7], s[0:1], 0x8
	s_load_b64 s[8:9], s[0:1], 0x40
	s_bfe_u32 s2, ttmp6, 0x4000c
	s_load_b32 s16, s[0:1], 0x18
	s_add_co_i32 s2, s2, 1
	s_and_b32 s3, ttmp6, 15
	s_mul_i32 s2, ttmp9, s2
	s_getreg_b32 s10, hwreg(HW_REG_IB_STS2, 6, 4)
	s_add_co_i32 s3, s3, s2
	s_cmp_eq_u32 s10, 0
	s_mov_b32 s13, 0
	s_cselect_b32 s3, ttmp9, s3
	s_wait_kmcnt 0x0
	v_mul_lo_u32 v4, s7, v0
	s_mul_i32 s2, s3, s7
	s_delay_alu instid0(SALU_CYCLE_1) | instskip(NEXT) | instid1(SALU_CYCLE_1)
	s_lshl_b32 s12, s2, 6
	s_lshl_b64 s[10:11], s[12:13], 2
	s_lshl_b32 s12, s7, 5
	s_add_nc_u64 s[14:15], s[8:9], s[10:11]
	s_cmp_gt_i32 s7, 0
	s_cselect_b32 s17, -1, 0
	s_delay_alu instid0(VALU_DEP_1) | instskip(SKIP_1) | instid1(VALU_DEP_1)
	v_ashrrev_i32_e32 v5, 31, v4
	s_cmp_lt_i32 s7, 1
	v_lshl_add_u64 v[2:3], v[4:5], 2, s[14:15]
	s_cbranch_scc1 .LBB9_5
; %bb.1:
	s_clause 0x1
	s_load_b64 s[8:9], s[0:1], 0x20
	s_load_b32 s18, s[0:1], 0x0
	v_mov_b64_e32 v[6:7], v[2:3]
	v_dual_mov_b32 v1, 0 :: v_dual_mov_b32 v12, v0
	s_mul_i32 s19, s6, s3
	s_lshl_b64 s[10:11], s[12:13], 2
	s_mov_b32 s20, s7
	s_branch .LBB9_3
.LBB9_2:                                ;   in Loop: Header=BB9_3 Depth=1
	s_wait_xcnt 0x0
	s_or_b32 exec_lo, exec_lo, s2
	v_add_nc_u64_e32 v[6:7], 4, v[6:7]
	v_add_nc_u32_e32 v12, 32, v12
	s_add_co_i32 s20, s20, -1
	s_delay_alu instid0(SALU_CYCLE_1)
	s_cmp_eq_u32 s20, 0
	s_cbranch_scc1 .LBB9_5
.LBB9_3:                                ; =>This Inner Loop Header: Depth=1
	s_delay_alu instid0(VALU_DEP_1) | instskip(NEXT) | instid1(VALU_DEP_3)
	v_add_nc_u32_e32 v10, s19, v12
	v_add_nc_u64_e32 v[8:9], s[10:11], v[6:7]
	v_cmp_gt_u32_e64 s2, s6, v12
	global_store_b32 v[6:7], v1, off
	s_wait_kmcnt 0x0
	v_cmp_gt_i32_e32 vcc_lo, s18, v10
	global_store_b32 v[8:9], v1, off
	s_and_b32 s21, s2, vcc_lo
	s_wait_xcnt 0x0
	s_and_saveexec_b32 s2, s21
	s_cbranch_execz .LBB9_2
; %bb.4:                                ;   in Loop: Header=BB9_3 Depth=1
	v_ashrrev_i32_e32 v11, 31, v10
	s_delay_alu instid0(VALU_DEP_1)
	v_lshl_add_u64 v[10:11], v[10:11], 2, s[8:9]
	global_load_b64 v[10:11], v[10:11], off
	s_wait_loadcnt 0x0
	v_subrev_nc_u32_e32 v10, s16, v10
	v_subrev_nc_u32_e32 v11, s16, v11
	s_clause 0x1
	global_store_b32 v[6:7], v10, off
	global_store_b32 v[8:9], v11, off
	s_branch .LBB9_2
.LBB9_5:
	s_load_b64 s[8:9], s[0:1], 0x38
	v_cmp_eq_u32_e64 s2, 31, v0
	s_cmp_lt_i32 s5, 1
	s_cbranch_scc1 .LBB9_20
; %bb.6:
	v_mbcnt_lo_u32_b32 v1, -1, 0
	s_abs_i32 s18, s6
	s_lshl_b64 s[20:21], s[12:13], 2
	s_cvt_f32_u32 s12, s18
	s_load_b64 s[10:11], s[0:1], 0x28
	v_xor_b32_e32 v8, 4, v1
	v_xor_b32_e32 v6, 16, v1
	v_rcp_iflag_f32_e32 v9, s12
	s_add_nc_u64 s[14:15], s[14:15], s[20:21]
	v_mov_b32_e32 v20, 0
	v_lshl_add_u64 v[4:5], v[4:5], 2, s[14:15]
	v_cmp_gt_i32_e32 vcc_lo, 32, v6
	s_sub_co_i32 s14, 0, s18
	s_mov_b32 s13, 0
	v_readfirstlane_b32 s12, v9
	v_dual_cndmask_b32 v6, v1, v6, vcc_lo :: v_dual_bitop2_b32 v7, 8, v1 bitop3:0x14
	s_ashr_i32 s6, s6, 31
	s_mov_b32 s15, s13
	s_mul_f32 s12, s12, 0x4f7ffffe
	s_delay_alu instid0(VALU_DEP_1)
	v_cmp_gt_i32_e32 vcc_lo, 32, v7
	v_lshlrev_b32_e32 v14, 2, v6
	s_mov_b32 s19, 0
	s_cvt_u32_f32 s12, s12
	v_dual_mov_b32 v19, 0x7c :: v_dual_cndmask_b32 v6, v1, v7
	v_xor_b32_e32 v7, 2, v1
	v_cmp_gt_i32_e32 vcc_lo, 32, v8
	s_mul_i32 s14, s14, s12
	s_delay_alu instid0(SALU_CYCLE_1) | instskip(SKIP_4) | instid1(VALU_DEP_3)
	s_mul_hi_u32 s14, s12, s14
	v_cndmask_b32_e32 v8, v1, v8, vcc_lo
	v_cmp_gt_i32_e32 vcc_lo, 32, v7
	v_xor_b32_e32 v10, 1, v1
	s_add_co_i32 s14, s12, s14
	v_dual_cndmask_b32 v7, v1, v7 :: v_dual_lshlrev_b32 v16, 2, v8
	s_delay_alu instid0(VALU_DEP_2) | instskip(NEXT) | instid1(VALU_DEP_2)
	v_cmp_gt_i32_e32 vcc_lo, 32, v10
	v_dual_lshlrev_b32 v15, 2, v6 :: v_dual_lshlrev_b32 v17, 2, v7
	v_dual_cndmask_b32 v1, v1, v10, vcc_lo :: v_dual_mov_b32 v7, 0
	s_delay_alu instid0(VALU_DEP_1)
	v_dual_mov_b32 v1, 0 :: v_dual_lshlrev_b32 v18, 2, v1
	s_branch .LBB9_8
.LBB9_7:                                ;   in Loop: Header=BB9_8 Depth=1
	ds_bpermute_b32 v6, v14, v21
	s_wait_dscnt 0x0
	v_min_i32_e32 v6, v6, v21
	ds_bpermute_b32 v8, v15, v6
	s_wait_dscnt 0x0
	v_min_i32_e32 v6, v8, v6
	;; [unrolled: 3-line block ×5, first 2 shown]
	ds_bpermute_b32 v6, v19, v6
	s_wait_dscnt 0x0
	v_cmp_gt_i32_e32 vcc_lo, s5, v6
	v_add_nc_u32_e32 v20, 1, v6
	s_and_b32 s12, s2, vcc_lo
	s_delay_alu instid0(SALU_CYCLE_1) | instskip(NEXT) | instid1(VALU_DEP_1)
	v_cndmask_b32_e64 v6, 0, 1, s12
	v_add_nc_u32_e32 v1, v1, v6
	s_delay_alu instid0(VALU_DEP_3) | instskip(SKIP_1) | instid1(SALU_CYCLE_1)
	v_cmp_le_i32_e32 vcc_lo, s5, v20
	s_or_b32 s19, vcc_lo, s19
	s_and_not1_b32 exec_lo, exec_lo, s19
	s_cbranch_execz .LBB9_19
.LBB9_8:                                ; =>This Loop Header: Depth=1
                                        ;     Child Loop BB9_12 Depth 2
                                        ;       Child Loop BB9_15 Depth 3
	v_mov_b32_e32 v21, s5
	s_and_not1_b32 vcc_lo, exec_lo, s17
	s_cbranch_vccnz .LBB9_7
; %bb.9:                                ;   in Loop: Header=BB9_8 Depth=1
	v_mov_b32_e32 v21, s5
	s_mov_b32 s12, 0
	s_branch .LBB9_12
.LBB9_10:                               ;   in Loop: Header=BB9_12 Depth=2
	s_wait_xcnt 0x0
	s_or_b32 exec_lo, exec_lo, s21
.LBB9_11:                               ;   in Loop: Header=BB9_12 Depth=2
	s_delay_alu instid0(SALU_CYCLE_1) | instskip(SKIP_1) | instid1(SALU_CYCLE_1)
	s_or_b32 exec_lo, exec_lo, s20
	s_add_co_i32 s12, s12, 1
	s_cmp_eq_u32 s12, s7
	s_cbranch_scc1 .LBB9_7
.LBB9_12:                               ;   Parent Loop BB9_8 Depth=1
                                        ; =>  This Loop Header: Depth=2
                                        ;       Child Loop BB9_15 Depth 3
	s_lshl_b64 s[20:21], s[12:13], 2
	s_delay_alu instid0(SALU_CYCLE_1)
	v_add_nc_u64_e32 v[8:9], s[20:21], v[2:3]
	v_add_nc_u64_e32 v[12:13], s[20:21], v[4:5]
	s_mov_b32 s20, exec_lo
	s_clause 0x1
	global_load_b32 v10, v[8:9], off
	global_load_b32 v22, v[12:13], off
	s_wait_loadcnt 0x0
	v_cmpx_lt_i32_e64 v10, v22
	s_cbranch_execz .LBB9_11
; %bb.13:                               ;   in Loop: Header=BB9_12 Depth=2
	v_ashrrev_i32_e32 v11, 31, v10
	s_mov_b32 s21, 0
                                        ; implicit-def: $sgpr22
                                        ; implicit-def: $sgpr24
                                        ; implicit-def: $sgpr23
	s_wait_kmcnt 0x0
	s_delay_alu instid0(VALU_DEP_1)
	v_lshl_add_u64 v[12:13], v[10:11], 2, s[10:11]
	s_branch .LBB9_15
.LBB9_14:                               ;   in Loop: Header=BB9_15 Depth=3
	s_or_b32 exec_lo, exec_lo, s25
	s_delay_alu instid0(SALU_CYCLE_1) | instskip(NEXT) | instid1(SALU_CYCLE_1)
	s_and_b32 s25, exec_lo, s24
	s_or_b32 s21, s25, s21
	s_and_not1_b32 s22, s22, exec_lo
	s_and_b32 s25, s23, exec_lo
	s_delay_alu instid0(SALU_CYCLE_1)
	s_or_b32 s22, s22, s25
	s_and_not1_b32 exec_lo, exec_lo, s21
	s_cbranch_execz .LBB9_17
.LBB9_15:                               ;   Parent Loop BB9_8 Depth=1
                                        ;     Parent Loop BB9_12 Depth=2
                                        ; =>    This Inner Loop Header: Depth=3
	global_load_b32 v6, v[12:13], off
	s_or_b32 s23, s23, exec_lo
	s_or_b32 s24, s24, exec_lo
	s_mov_b32 s25, exec_lo
	s_wait_loadcnt 0x0
	v_subrev_nc_u32_e32 v11, s16, v6
	s_delay_alu instid0(VALU_DEP_1) | instskip(NEXT) | instid1(VALU_DEP_1)
	v_sub_nc_u32_e32 v6, 0, v11
	v_max_i32_e32 v6, v11, v6
	s_delay_alu instid0(VALU_DEP_1) | instskip(NEXT) | instid1(VALU_DEP_1)
	v_mul_u64_e32 v[24:25], s[14:15], v[6:7]
	v_mul_lo_u32 v23, v25, s18
	s_delay_alu instid0(VALU_DEP_1) | instskip(NEXT) | instid1(VALU_DEP_1)
	v_dual_sub_nc_u32 v6, v6, v23 :: v_dual_add_nc_u32 v23, 1, v25
	v_subrev_nc_u32_e32 v24, s18, v6
	v_cmp_le_u32_e32 vcc_lo, s18, v6
	s_delay_alu instid0(VALU_DEP_2) | instskip(NEXT) | instid1(VALU_DEP_4)
	v_dual_cndmask_b32 v6, v6, v24 :: v_dual_ashrrev_i32 v11, 31, v11
	v_cndmask_b32_e32 v23, v25, v23, vcc_lo
	s_delay_alu instid0(VALU_DEP_2) | instskip(NEXT) | instid1(VALU_DEP_2)
	v_cmp_le_u32_e32 vcc_lo, s18, v6
	v_add_nc_u32_e32 v24, 1, v23
	s_delay_alu instid0(VALU_DEP_1) | instskip(NEXT) | instid1(VALU_DEP_1)
	v_dual_cndmask_b32 v6, v23, v24, vcc_lo :: v_dual_bitop2_b32 v11, s6, v11 bitop3:0x14
	v_xor_b32_e32 v6, v6, v11
	s_delay_alu instid0(VALU_DEP_1) | instskip(SKIP_2) | instid1(VALU_DEP_2)
	v_sub_nc_u32_e32 v11, v6, v11
	v_mov_b32_e32 v6, v10
                                        ; implicit-def: $vgpr10
	s_wait_xcnt 0x0
	v_cmpx_lt_i32_e64 v11, v20
	s_cbranch_execz .LBB9_14
; %bb.16:                               ;   in Loop: Header=BB9_15 Depth=3
	s_delay_alu instid0(VALU_DEP_2) | instskip(SKIP_3) | instid1(VALU_DEP_2)
	v_add_nc_u32_e32 v10, 1, v6
	v_add_nc_u64_e32 v[12:13], 4, v[12:13]
	s_and_not1_b32 s24, s24, exec_lo
	s_and_not1_b32 s23, s23, exec_lo
	v_cmp_ge_i32_e32 vcc_lo, v10, v22
	s_and_b32 s26, vcc_lo, exec_lo
	s_delay_alu instid0(SALU_CYCLE_1)
	s_or_b32 s24, s24, s26
	s_branch .LBB9_14
.LBB9_17:                               ;   in Loop: Header=BB9_12 Depth=2
	s_or_b32 exec_lo, exec_lo, s21
	s_and_saveexec_b32 s21, s22
	s_delay_alu instid0(SALU_CYCLE_1)
	s_xor_b32 s21, exec_lo, s21
	s_cbranch_execz .LBB9_10
; %bb.18:                               ;   in Loop: Header=BB9_12 Depth=2
	v_min_i32_e32 v21, v11, v21
	global_store_b32 v[8:9], v6, off
	s_branch .LBB9_10
.LBB9_19:
	s_or_b32 exec_lo, exec_lo, s19
	s_branch .LBB9_21
.LBB9_20:
	v_mov_b32_e32 v1, 0
.LBB9_21:
	v_cmp_eq_u32_e32 vcc_lo, 31, v0
	s_cmp_lt_i32 s3, s4
	s_cselect_b32 s2, -1, 0
	s_delay_alu instid0(SALU_CYCLE_1) | instskip(NEXT) | instid1(SALU_CYCLE_1)
	s_and_b32 s2, vcc_lo, s2
	s_and_saveexec_b32 s4, s2
	s_cbranch_execz .LBB9_23
; %bb.22:
	s_wait_xcnt 0x0
	s_load_b32 s0, s[0:1], 0x30
	v_dual_mov_b32 v0, 0 :: v_dual_mov_b32 v3, s3
	s_wait_kmcnt 0x0
	v_mov_b32_e32 v2, s0
	s_clause 0x1
	global_store_b32 v0, v2, s[8:9]
	global_store_b32 v3, v1, s[8:9] offset:4 scale_offset
.LBB9_23:
	s_endpgm
	.section	.rodata,"a",@progbits
	.p2align	6, 0x0
	.amdhsa_kernel _ZN9rocsparseL25csr2bsr_nnz_65_inf_kernelILj32EiiEEvT1_S1_S1_S1_S1_S1_21rocsparse_index_base_PKT0_PKS1_S2_PS3_S8_
		.amdhsa_group_segment_fixed_size 0
		.amdhsa_private_segment_fixed_size 0
		.amdhsa_kernarg_size 72
		.amdhsa_user_sgpr_count 2
		.amdhsa_user_sgpr_dispatch_ptr 0
		.amdhsa_user_sgpr_queue_ptr 0
		.amdhsa_user_sgpr_kernarg_segment_ptr 1
		.amdhsa_user_sgpr_dispatch_id 0
		.amdhsa_user_sgpr_kernarg_preload_length 0
		.amdhsa_user_sgpr_kernarg_preload_offset 0
		.amdhsa_user_sgpr_private_segment_size 0
		.amdhsa_wavefront_size32 1
		.amdhsa_uses_dynamic_stack 0
		.amdhsa_enable_private_segment 0
		.amdhsa_system_sgpr_workgroup_id_x 1
		.amdhsa_system_sgpr_workgroup_id_y 0
		.amdhsa_system_sgpr_workgroup_id_z 0
		.amdhsa_system_sgpr_workgroup_info 0
		.amdhsa_system_vgpr_workitem_id 0
		.amdhsa_next_free_vgpr 26
		.amdhsa_next_free_sgpr 27
		.amdhsa_named_barrier_count 0
		.amdhsa_reserve_vcc 1
		.amdhsa_float_round_mode_32 0
		.amdhsa_float_round_mode_16_64 0
		.amdhsa_float_denorm_mode_32 3
		.amdhsa_float_denorm_mode_16_64 3
		.amdhsa_fp16_overflow 0
		.amdhsa_memory_ordered 1
		.amdhsa_forward_progress 1
		.amdhsa_inst_pref_size 10
		.amdhsa_round_robin_scheduling 0
		.amdhsa_exception_fp_ieee_invalid_op 0
		.amdhsa_exception_fp_denorm_src 0
		.amdhsa_exception_fp_ieee_div_zero 0
		.amdhsa_exception_fp_ieee_overflow 0
		.amdhsa_exception_fp_ieee_underflow 0
		.amdhsa_exception_fp_ieee_inexact 0
		.amdhsa_exception_int_div_zero 0
	.end_amdhsa_kernel
	.section	.text._ZN9rocsparseL25csr2bsr_nnz_65_inf_kernelILj32EiiEEvT1_S1_S1_S1_S1_S1_21rocsparse_index_base_PKT0_PKS1_S2_PS3_S8_,"axG",@progbits,_ZN9rocsparseL25csr2bsr_nnz_65_inf_kernelILj32EiiEEvT1_S1_S1_S1_S1_S1_21rocsparse_index_base_PKT0_PKS1_S2_PS3_S8_,comdat
.Lfunc_end9:
	.size	_ZN9rocsparseL25csr2bsr_nnz_65_inf_kernelILj32EiiEEvT1_S1_S1_S1_S1_S1_21rocsparse_index_base_PKT0_PKS1_S2_PS3_S8_, .Lfunc_end9-_ZN9rocsparseL25csr2bsr_nnz_65_inf_kernelILj32EiiEEvT1_S1_S1_S1_S1_S1_21rocsparse_index_base_PKT0_PKS1_S2_PS3_S8_
                                        ; -- End function
	.set _ZN9rocsparseL25csr2bsr_nnz_65_inf_kernelILj32EiiEEvT1_S1_S1_S1_S1_S1_21rocsparse_index_base_PKT0_PKS1_S2_PS3_S8_.num_vgpr, 26
	.set _ZN9rocsparseL25csr2bsr_nnz_65_inf_kernelILj32EiiEEvT1_S1_S1_S1_S1_S1_21rocsparse_index_base_PKT0_PKS1_S2_PS3_S8_.num_agpr, 0
	.set _ZN9rocsparseL25csr2bsr_nnz_65_inf_kernelILj32EiiEEvT1_S1_S1_S1_S1_S1_21rocsparse_index_base_PKT0_PKS1_S2_PS3_S8_.numbered_sgpr, 27
	.set _ZN9rocsparseL25csr2bsr_nnz_65_inf_kernelILj32EiiEEvT1_S1_S1_S1_S1_S1_21rocsparse_index_base_PKT0_PKS1_S2_PS3_S8_.num_named_barrier, 0
	.set _ZN9rocsparseL25csr2bsr_nnz_65_inf_kernelILj32EiiEEvT1_S1_S1_S1_S1_S1_21rocsparse_index_base_PKT0_PKS1_S2_PS3_S8_.private_seg_size, 0
	.set _ZN9rocsparseL25csr2bsr_nnz_65_inf_kernelILj32EiiEEvT1_S1_S1_S1_S1_S1_21rocsparse_index_base_PKT0_PKS1_S2_PS3_S8_.uses_vcc, 1
	.set _ZN9rocsparseL25csr2bsr_nnz_65_inf_kernelILj32EiiEEvT1_S1_S1_S1_S1_S1_21rocsparse_index_base_PKT0_PKS1_S2_PS3_S8_.uses_flat_scratch, 0
	.set _ZN9rocsparseL25csr2bsr_nnz_65_inf_kernelILj32EiiEEvT1_S1_S1_S1_S1_S1_21rocsparse_index_base_PKT0_PKS1_S2_PS3_S8_.has_dyn_sized_stack, 0
	.set _ZN9rocsparseL25csr2bsr_nnz_65_inf_kernelILj32EiiEEvT1_S1_S1_S1_S1_S1_21rocsparse_index_base_PKT0_PKS1_S2_PS3_S8_.has_recursion, 0
	.set _ZN9rocsparseL25csr2bsr_nnz_65_inf_kernelILj32EiiEEvT1_S1_S1_S1_S1_S1_21rocsparse_index_base_PKT0_PKS1_S2_PS3_S8_.has_indirect_call, 0
	.section	.AMDGPU.csdata,"",@progbits
; Kernel info:
; codeLenInByte = 1268
; TotalNumSgprs: 29
; NumVgprs: 26
; ScratchSize: 0
; MemoryBound: 0
; FloatMode: 240
; IeeeMode: 1
; LDSByteSize: 0 bytes/workgroup (compile time only)
; SGPRBlocks: 0
; VGPRBlocks: 1
; NumSGPRsForWavesPerEU: 29
; NumVGPRsForWavesPerEU: 26
; NamedBarCnt: 0
; Occupancy: 16
; WaveLimiterHint : 0
; COMPUTE_PGM_RSRC2:SCRATCH_EN: 0
; COMPUTE_PGM_RSRC2:USER_SGPR: 2
; COMPUTE_PGM_RSRC2:TRAP_HANDLER: 0
; COMPUTE_PGM_RSRC2:TGID_X_EN: 1
; COMPUTE_PGM_RSRC2:TGID_Y_EN: 0
; COMPUTE_PGM_RSRC2:TGID_Z_EN: 0
; COMPUTE_PGM_RSRC2:TIDIG_COMP_CNT: 0
	.section	.text._ZN9rocsparseL36csr2bsr_nnz_compute_nnz_total_kernelILj1EiiEEvT1_PKT0_PS2_,"axG",@progbits,_ZN9rocsparseL36csr2bsr_nnz_compute_nnz_total_kernelILj1EiiEEvT1_PKT0_PS2_,comdat
	.globl	_ZN9rocsparseL36csr2bsr_nnz_compute_nnz_total_kernelILj1EiiEEvT1_PKT0_PS2_ ; -- Begin function _ZN9rocsparseL36csr2bsr_nnz_compute_nnz_total_kernelILj1EiiEEvT1_PKT0_PS2_
	.p2align	8
	.type	_ZN9rocsparseL36csr2bsr_nnz_compute_nnz_total_kernelILj1EiiEEvT1_PKT0_PS2_,@function
_ZN9rocsparseL36csr2bsr_nnz_compute_nnz_total_kernelILj1EiiEEvT1_PKT0_PS2_: ; @_ZN9rocsparseL36csr2bsr_nnz_compute_nnz_total_kernelILj1EiiEEvT1_PKT0_PS2_
; %bb.0:
	s_bfe_u32 s2, ttmp6, 0x4000c
	s_and_b32 s3, ttmp6, 15
	s_add_co_i32 s2, s2, 1
	s_getreg_b32 s4, hwreg(HW_REG_IB_STS2, 6, 4)
	s_mul_i32 s2, ttmp9, s2
	s_delay_alu instid0(SALU_CYCLE_1) | instskip(SKIP_2) | instid1(SALU_CYCLE_1)
	s_add_co_i32 s3, s3, s2
	s_cmp_eq_u32 s4, 0
	s_cselect_b32 s2, ttmp9, s3
	s_sub_co_i32 s2, 0, s2
	s_delay_alu instid0(SALU_CYCLE_1)
	s_cmp_lg_u32 0, s2
	s_cbranch_scc1 .LBB10_2
; %bb.1:
	s_clause 0x1
	s_load_b32 s2, s[0:1], 0x0
	s_load_b128 s[4:7], s[0:1], 0x8
	s_wait_kmcnt 0x0
	s_ashr_i32 s3, s2, 31
	s_delay_alu instid0(SALU_CYCLE_1) | instskip(NEXT) | instid1(SALU_CYCLE_1)
	s_lshl_b64 s[0:1], s[2:3], 2
	s_add_nc_u64 s[0:1], s[4:5], s[0:1]
	s_clause 0x1
	s_load_b32 s2, s[0:1], 0x0
	s_load_b32 s3, s[4:5], 0x0
	s_wait_kmcnt 0x0
	s_sub_co_i32 s0, s2, s3
	s_delay_alu instid0(SALU_CYCLE_1)
	v_dual_mov_b32 v0, 0 :: v_dual_mov_b32 v1, s0
	global_store_b32 v0, v1, s[6:7]
.LBB10_2:
	s_endpgm
	.section	.rodata,"a",@progbits
	.p2align	6, 0x0
	.amdhsa_kernel _ZN9rocsparseL36csr2bsr_nnz_compute_nnz_total_kernelILj1EiiEEvT1_PKT0_PS2_
		.amdhsa_group_segment_fixed_size 0
		.amdhsa_private_segment_fixed_size 0
		.amdhsa_kernarg_size 24
		.amdhsa_user_sgpr_count 2
		.amdhsa_user_sgpr_dispatch_ptr 0
		.amdhsa_user_sgpr_queue_ptr 0
		.amdhsa_user_sgpr_kernarg_segment_ptr 1
		.amdhsa_user_sgpr_dispatch_id 0
		.amdhsa_user_sgpr_kernarg_preload_length 0
		.amdhsa_user_sgpr_kernarg_preload_offset 0
		.amdhsa_user_sgpr_private_segment_size 0
		.amdhsa_wavefront_size32 1
		.amdhsa_uses_dynamic_stack 0
		.amdhsa_enable_private_segment 0
		.amdhsa_system_sgpr_workgroup_id_x 1
		.amdhsa_system_sgpr_workgroup_id_y 0
		.amdhsa_system_sgpr_workgroup_id_z 0
		.amdhsa_system_sgpr_workgroup_info 0
		.amdhsa_system_vgpr_workitem_id 0
		.amdhsa_next_free_vgpr 2
		.amdhsa_next_free_sgpr 8
		.amdhsa_named_barrier_count 0
		.amdhsa_reserve_vcc 0
		.amdhsa_float_round_mode_32 0
		.amdhsa_float_round_mode_16_64 0
		.amdhsa_float_denorm_mode_32 3
		.amdhsa_float_denorm_mode_16_64 3
		.amdhsa_fp16_overflow 0
		.amdhsa_memory_ordered 1
		.amdhsa_forward_progress 1
		.amdhsa_inst_pref_size 2
		.amdhsa_round_robin_scheduling 0
		.amdhsa_exception_fp_ieee_invalid_op 0
		.amdhsa_exception_fp_denorm_src 0
		.amdhsa_exception_fp_ieee_div_zero 0
		.amdhsa_exception_fp_ieee_overflow 0
		.amdhsa_exception_fp_ieee_underflow 0
		.amdhsa_exception_fp_ieee_inexact 0
		.amdhsa_exception_int_div_zero 0
	.end_amdhsa_kernel
	.section	.text._ZN9rocsparseL36csr2bsr_nnz_compute_nnz_total_kernelILj1EiiEEvT1_PKT0_PS2_,"axG",@progbits,_ZN9rocsparseL36csr2bsr_nnz_compute_nnz_total_kernelILj1EiiEEvT1_PKT0_PS2_,comdat
.Lfunc_end10:
	.size	_ZN9rocsparseL36csr2bsr_nnz_compute_nnz_total_kernelILj1EiiEEvT1_PKT0_PS2_, .Lfunc_end10-_ZN9rocsparseL36csr2bsr_nnz_compute_nnz_total_kernelILj1EiiEEvT1_PKT0_PS2_
                                        ; -- End function
	.set _ZN9rocsparseL36csr2bsr_nnz_compute_nnz_total_kernelILj1EiiEEvT1_PKT0_PS2_.num_vgpr, 2
	.set _ZN9rocsparseL36csr2bsr_nnz_compute_nnz_total_kernelILj1EiiEEvT1_PKT0_PS2_.num_agpr, 0
	.set _ZN9rocsparseL36csr2bsr_nnz_compute_nnz_total_kernelILj1EiiEEvT1_PKT0_PS2_.numbered_sgpr, 8
	.set _ZN9rocsparseL36csr2bsr_nnz_compute_nnz_total_kernelILj1EiiEEvT1_PKT0_PS2_.num_named_barrier, 0
	.set _ZN9rocsparseL36csr2bsr_nnz_compute_nnz_total_kernelILj1EiiEEvT1_PKT0_PS2_.private_seg_size, 0
	.set _ZN9rocsparseL36csr2bsr_nnz_compute_nnz_total_kernelILj1EiiEEvT1_PKT0_PS2_.uses_vcc, 0
	.set _ZN9rocsparseL36csr2bsr_nnz_compute_nnz_total_kernelILj1EiiEEvT1_PKT0_PS2_.uses_flat_scratch, 0
	.set _ZN9rocsparseL36csr2bsr_nnz_compute_nnz_total_kernelILj1EiiEEvT1_PKT0_PS2_.has_dyn_sized_stack, 0
	.set _ZN9rocsparseL36csr2bsr_nnz_compute_nnz_total_kernelILj1EiiEEvT1_PKT0_PS2_.has_recursion, 0
	.set _ZN9rocsparseL36csr2bsr_nnz_compute_nnz_total_kernelILj1EiiEEvT1_PKT0_PS2_.has_indirect_call, 0
	.section	.AMDGPU.csdata,"",@progbits
; Kernel info:
; codeLenInByte = 152
; TotalNumSgprs: 8
; NumVgprs: 2
; ScratchSize: 0
; MemoryBound: 0
; FloatMode: 240
; IeeeMode: 1
; LDSByteSize: 0 bytes/workgroup (compile time only)
; SGPRBlocks: 0
; VGPRBlocks: 0
; NumSGPRsForWavesPerEU: 8
; NumVGPRsForWavesPerEU: 2
; NamedBarCnt: 0
; Occupancy: 16
; WaveLimiterHint : 0
; COMPUTE_PGM_RSRC2:SCRATCH_EN: 0
; COMPUTE_PGM_RSRC2:USER_SGPR: 2
; COMPUTE_PGM_RSRC2:TRAP_HANDLER: 0
; COMPUTE_PGM_RSRC2:TGID_X_EN: 1
; COMPUTE_PGM_RSRC2:TGID_Y_EN: 0
; COMPUTE_PGM_RSRC2:TGID_Z_EN: 0
; COMPUTE_PGM_RSRC2:TIDIG_COMP_CNT: 0
	.section	.text._ZN9rocsparseL39csr2bsr_nnz_block_dim_equals_one_kernelILj256EliEEvT1_21rocsparse_index_base_PKT0_S2_PS3_S6_,"axG",@progbits,_ZN9rocsparseL39csr2bsr_nnz_block_dim_equals_one_kernelILj256EliEEvT1_21rocsparse_index_base_PKT0_S2_PS3_S6_,comdat
	.globl	_ZN9rocsparseL39csr2bsr_nnz_block_dim_equals_one_kernelILj256EliEEvT1_21rocsparse_index_base_PKT0_S2_PS3_S6_ ; -- Begin function _ZN9rocsparseL39csr2bsr_nnz_block_dim_equals_one_kernelILj256EliEEvT1_21rocsparse_index_base_PKT0_S2_PS3_S6_
	.p2align	8
	.type	_ZN9rocsparseL39csr2bsr_nnz_block_dim_equals_one_kernelILj256EliEEvT1_21rocsparse_index_base_PKT0_S2_PS3_S6_,@function
_ZN9rocsparseL39csr2bsr_nnz_block_dim_equals_one_kernelILj256EliEEvT1_21rocsparse_index_base_PKT0_S2_PS3_S6_: ; @_ZN9rocsparseL39csr2bsr_nnz_block_dim_equals_one_kernelILj256EliEEvT1_21rocsparse_index_base_PKT0_S2_PS3_S6_
; %bb.0:
	s_clause 0x1
	s_load_b32 s2, s[0:1], 0x34
	s_load_b128 s[4:7], s[0:1], 0x0
	s_bfe_u32 s3, ttmp6, 0x4000c
	s_and_b32 s8, ttmp6, 15
	s_add_co_i32 s3, s3, 1
	s_getreg_b32 s9, hwreg(HW_REG_IB_STS2, 6, 4)
	s_mul_i32 s3, ttmp9, s3
	s_delay_alu instid0(SALU_CYCLE_1)
	s_add_co_i32 s8, s8, s3
	s_wait_kmcnt 0x0
	s_and_b32 s2, s2, 0xffff
	s_cmp_eq_u32 s9, 0
	s_cselect_b32 s3, ttmp9, s8
	s_mov_b32 s8, exec_lo
	v_mad_u32 v0, s3, s2, v0
	s_mov_b32 s3, 0
	s_delay_alu instid0(VALU_DEP_1)
	v_cmpx_ge_i32_e64 s4, v0
	s_cbranch_execz .LBB11_2
; %bb.1:
	global_load_b64 v[2:3], v0, s[6:7] scale_offset
	s_clause 0x1
	s_load_b32 s2, s[0:1], 0x10
	s_load_b64 s[10:11], s[0:1], 0x18
	s_mov_b32 s12, s5
	s_mov_b32 s13, s3
	s_wait_kmcnt 0x0
	s_sub_nc_u64 s[2:3], s[2:3], s[12:13]
	s_wait_loadcnt 0x0
	v_add_nc_u64_e32 v[2:3], s[2:3], v[2:3]
	global_store_b64 v0, v[2:3], s[10:11] scale_offset
.LBB11_2:
	s_wait_xcnt 0x0
	s_or_b32 exec_lo, exec_lo, s8
	s_delay_alu instid0(SALU_CYCLE_1)
	s_mov_b32 s2, exec_lo
	v_cmpx_eq_u32_e32 0, v0
	s_cbranch_execz .LBB11_4
; %bb.3:
	s_ashr_i32 s5, s4, 31
	v_mov_b32_e32 v2, 0
	s_lshl_b64 s[2:3], s[4:5], 3
	s_delay_alu instid0(SALU_CYCLE_1)
	s_add_nc_u64 s[2:3], s[6:7], s[2:3]
	s_clause 0x1
	s_load_b64 s[4:5], s[2:3], 0x0
	s_load_b64 s[8:9], s[6:7], 0x0
	s_load_b64 s[10:11], s[0:1], 0x20
	s_wait_kmcnt 0x0
	s_sub_nc_u64 s[0:1], s[4:5], s[8:9]
	s_delay_alu instid0(SALU_CYCLE_1)
	v_mov_b64_e32 v[0:1], s[0:1]
	global_store_b64 v2, v[0:1], s[10:11]
.LBB11_4:
	s_endpgm
	.section	.rodata,"a",@progbits
	.p2align	6, 0x0
	.amdhsa_kernel _ZN9rocsparseL39csr2bsr_nnz_block_dim_equals_one_kernelILj256EliEEvT1_21rocsparse_index_base_PKT0_S2_PS3_S6_
		.amdhsa_group_segment_fixed_size 0
		.amdhsa_private_segment_fixed_size 0
		.amdhsa_kernarg_size 296
		.amdhsa_user_sgpr_count 2
		.amdhsa_user_sgpr_dispatch_ptr 0
		.amdhsa_user_sgpr_queue_ptr 0
		.amdhsa_user_sgpr_kernarg_segment_ptr 1
		.amdhsa_user_sgpr_dispatch_id 0
		.amdhsa_user_sgpr_kernarg_preload_length 0
		.amdhsa_user_sgpr_kernarg_preload_offset 0
		.amdhsa_user_sgpr_private_segment_size 0
		.amdhsa_wavefront_size32 1
		.amdhsa_uses_dynamic_stack 0
		.amdhsa_enable_private_segment 0
		.amdhsa_system_sgpr_workgroup_id_x 1
		.amdhsa_system_sgpr_workgroup_id_y 0
		.amdhsa_system_sgpr_workgroup_id_z 0
		.amdhsa_system_sgpr_workgroup_info 0
		.amdhsa_system_vgpr_workitem_id 0
		.amdhsa_next_free_vgpr 4
		.amdhsa_next_free_sgpr 14
		.amdhsa_named_barrier_count 0
		.amdhsa_reserve_vcc 0
		.amdhsa_float_round_mode_32 0
		.amdhsa_float_round_mode_16_64 0
		.amdhsa_float_denorm_mode_32 3
		.amdhsa_float_denorm_mode_16_64 3
		.amdhsa_fp16_overflow 0
		.amdhsa_memory_ordered 1
		.amdhsa_forward_progress 1
		.amdhsa_inst_pref_size 3
		.amdhsa_round_robin_scheduling 0
		.amdhsa_exception_fp_ieee_invalid_op 0
		.amdhsa_exception_fp_denorm_src 0
		.amdhsa_exception_fp_ieee_div_zero 0
		.amdhsa_exception_fp_ieee_overflow 0
		.amdhsa_exception_fp_ieee_underflow 0
		.amdhsa_exception_fp_ieee_inexact 0
		.amdhsa_exception_int_div_zero 0
	.end_amdhsa_kernel
	.section	.text._ZN9rocsparseL39csr2bsr_nnz_block_dim_equals_one_kernelILj256EliEEvT1_21rocsparse_index_base_PKT0_S2_PS3_S6_,"axG",@progbits,_ZN9rocsparseL39csr2bsr_nnz_block_dim_equals_one_kernelILj256EliEEvT1_21rocsparse_index_base_PKT0_S2_PS3_S6_,comdat
.Lfunc_end11:
	.size	_ZN9rocsparseL39csr2bsr_nnz_block_dim_equals_one_kernelILj256EliEEvT1_21rocsparse_index_base_PKT0_S2_PS3_S6_, .Lfunc_end11-_ZN9rocsparseL39csr2bsr_nnz_block_dim_equals_one_kernelILj256EliEEvT1_21rocsparse_index_base_PKT0_S2_PS3_S6_
                                        ; -- End function
	.set _ZN9rocsparseL39csr2bsr_nnz_block_dim_equals_one_kernelILj256EliEEvT1_21rocsparse_index_base_PKT0_S2_PS3_S6_.num_vgpr, 4
	.set _ZN9rocsparseL39csr2bsr_nnz_block_dim_equals_one_kernelILj256EliEEvT1_21rocsparse_index_base_PKT0_S2_PS3_S6_.num_agpr, 0
	.set _ZN9rocsparseL39csr2bsr_nnz_block_dim_equals_one_kernelILj256EliEEvT1_21rocsparse_index_base_PKT0_S2_PS3_S6_.numbered_sgpr, 14
	.set _ZN9rocsparseL39csr2bsr_nnz_block_dim_equals_one_kernelILj256EliEEvT1_21rocsparse_index_base_PKT0_S2_PS3_S6_.num_named_barrier, 0
	.set _ZN9rocsparseL39csr2bsr_nnz_block_dim_equals_one_kernelILj256EliEEvT1_21rocsparse_index_base_PKT0_S2_PS3_S6_.private_seg_size, 0
	.set _ZN9rocsparseL39csr2bsr_nnz_block_dim_equals_one_kernelILj256EliEEvT1_21rocsparse_index_base_PKT0_S2_PS3_S6_.uses_vcc, 0
	.set _ZN9rocsparseL39csr2bsr_nnz_block_dim_equals_one_kernelILj256EliEEvT1_21rocsparse_index_base_PKT0_S2_PS3_S6_.uses_flat_scratch, 0
	.set _ZN9rocsparseL39csr2bsr_nnz_block_dim_equals_one_kernelILj256EliEEvT1_21rocsparse_index_base_PKT0_S2_PS3_S6_.has_dyn_sized_stack, 0
	.set _ZN9rocsparseL39csr2bsr_nnz_block_dim_equals_one_kernelILj256EliEEvT1_21rocsparse_index_base_PKT0_S2_PS3_S6_.has_recursion, 0
	.set _ZN9rocsparseL39csr2bsr_nnz_block_dim_equals_one_kernelILj256EliEEvT1_21rocsparse_index_base_PKT0_S2_PS3_S6_.has_indirect_call, 0
	.section	.AMDGPU.csdata,"",@progbits
; Kernel info:
; codeLenInByte = 276
; TotalNumSgprs: 14
; NumVgprs: 4
; ScratchSize: 0
; MemoryBound: 1
; FloatMode: 240
; IeeeMode: 1
; LDSByteSize: 0 bytes/workgroup (compile time only)
; SGPRBlocks: 0
; VGPRBlocks: 0
; NumSGPRsForWavesPerEU: 14
; NumVGPRsForWavesPerEU: 4
; NamedBarCnt: 0
; Occupancy: 16
; WaveLimiterHint : 0
; COMPUTE_PGM_RSRC2:SCRATCH_EN: 0
; COMPUTE_PGM_RSRC2:USER_SGPR: 2
; COMPUTE_PGM_RSRC2:TRAP_HANDLER: 0
; COMPUTE_PGM_RSRC2:TGID_X_EN: 1
; COMPUTE_PGM_RSRC2:TGID_Y_EN: 0
; COMPUTE_PGM_RSRC2:TGID_Z_EN: 0
; COMPUTE_PGM_RSRC2:TIDIG_COMP_CNT: 0
	.section	.text._ZN9rocsparseL39csr2bsr_nnz_block_dim_equals_one_kernelILj256EliEEvT1_21rocsparse_index_base_PKT0_S2_PS3_,"axG",@progbits,_ZN9rocsparseL39csr2bsr_nnz_block_dim_equals_one_kernelILj256EliEEvT1_21rocsparse_index_base_PKT0_S2_PS3_,comdat
	.globl	_ZN9rocsparseL39csr2bsr_nnz_block_dim_equals_one_kernelILj256EliEEvT1_21rocsparse_index_base_PKT0_S2_PS3_ ; -- Begin function _ZN9rocsparseL39csr2bsr_nnz_block_dim_equals_one_kernelILj256EliEEvT1_21rocsparse_index_base_PKT0_S2_PS3_
	.p2align	8
	.type	_ZN9rocsparseL39csr2bsr_nnz_block_dim_equals_one_kernelILj256EliEEvT1_21rocsparse_index_base_PKT0_S2_PS3_,@function
_ZN9rocsparseL39csr2bsr_nnz_block_dim_equals_one_kernelILj256EliEEvT1_21rocsparse_index_base_PKT0_S2_PS3_: ; @_ZN9rocsparseL39csr2bsr_nnz_block_dim_equals_one_kernelILj256EliEEvT1_21rocsparse_index_base_PKT0_S2_PS3_
; %bb.0:
	s_load_b64 s[2:3], s[0:1], 0x0
	s_bfe_u32 s4, ttmp6, 0x4000c
	s_and_b32 s5, ttmp6, 15
	s_add_co_i32 s4, s4, 1
	s_getreg_b32 s6, hwreg(HW_REG_IB_STS2, 6, 4)
	s_mul_i32 s4, ttmp9, s4
	s_delay_alu instid0(SALU_CYCLE_1)
	s_add_co_i32 s5, s5, s4
	s_cmp_eq_u32 s6, 0
	s_cselect_b32 s4, ttmp9, s5
	s_mov_b32 s5, 0
	v_lshl_or_b32 v0, s4, 8, v0
	s_wait_kmcnt 0x0
	s_delay_alu instid0(VALU_DEP_1)
	v_cmp_ge_i32_e32 vcc_lo, s2, v0
	s_and_saveexec_b32 s2, vcc_lo
	s_cbranch_execz .LBB12_2
; %bb.1:
	s_clause 0x1
	s_load_b96 s[8:10], s[0:1], 0x8
	s_load_b64 s[6:7], s[0:1], 0x18
	s_wait_xcnt 0x0
	s_mov_b32 s0, s3
	s_mov_b32 s1, s5
	s_wait_kmcnt 0x0
	global_load_b64 v[2:3], v0, s[8:9] scale_offset
	s_mov_b32 s4, s10
	s_delay_alu instid0(SALU_CYCLE_1)
	s_sub_nc_u64 s[0:1], s[4:5], s[0:1]
	s_wait_loadcnt 0x0
	v_add_nc_u64_e32 v[2:3], s[0:1], v[2:3]
	global_store_b64 v0, v[2:3], s[6:7] scale_offset
.LBB12_2:
	s_endpgm
	.section	.rodata,"a",@progbits
	.p2align	6, 0x0
	.amdhsa_kernel _ZN9rocsparseL39csr2bsr_nnz_block_dim_equals_one_kernelILj256EliEEvT1_21rocsparse_index_base_PKT0_S2_PS3_
		.amdhsa_group_segment_fixed_size 0
		.amdhsa_private_segment_fixed_size 0
		.amdhsa_kernarg_size 32
		.amdhsa_user_sgpr_count 2
		.amdhsa_user_sgpr_dispatch_ptr 0
		.amdhsa_user_sgpr_queue_ptr 0
		.amdhsa_user_sgpr_kernarg_segment_ptr 1
		.amdhsa_user_sgpr_dispatch_id 0
		.amdhsa_user_sgpr_kernarg_preload_length 0
		.amdhsa_user_sgpr_kernarg_preload_offset 0
		.amdhsa_user_sgpr_private_segment_size 0
		.amdhsa_wavefront_size32 1
		.amdhsa_uses_dynamic_stack 0
		.amdhsa_enable_private_segment 0
		.amdhsa_system_sgpr_workgroup_id_x 1
		.amdhsa_system_sgpr_workgroup_id_y 0
		.amdhsa_system_sgpr_workgroup_id_z 0
		.amdhsa_system_sgpr_workgroup_info 0
		.amdhsa_system_vgpr_workitem_id 0
		.amdhsa_next_free_vgpr 4
		.amdhsa_next_free_sgpr 11
		.amdhsa_named_barrier_count 0
		.amdhsa_reserve_vcc 1
		.amdhsa_float_round_mode_32 0
		.amdhsa_float_round_mode_16_64 0
		.amdhsa_float_denorm_mode_32 3
		.amdhsa_float_denorm_mode_16_64 3
		.amdhsa_fp16_overflow 0
		.amdhsa_memory_ordered 1
		.amdhsa_forward_progress 1
		.amdhsa_inst_pref_size 2
		.amdhsa_round_robin_scheduling 0
		.amdhsa_exception_fp_ieee_invalid_op 0
		.amdhsa_exception_fp_denorm_src 0
		.amdhsa_exception_fp_ieee_div_zero 0
		.amdhsa_exception_fp_ieee_overflow 0
		.amdhsa_exception_fp_ieee_underflow 0
		.amdhsa_exception_fp_ieee_inexact 0
		.amdhsa_exception_int_div_zero 0
	.end_amdhsa_kernel
	.section	.text._ZN9rocsparseL39csr2bsr_nnz_block_dim_equals_one_kernelILj256EliEEvT1_21rocsparse_index_base_PKT0_S2_PS3_,"axG",@progbits,_ZN9rocsparseL39csr2bsr_nnz_block_dim_equals_one_kernelILj256EliEEvT1_21rocsparse_index_base_PKT0_S2_PS3_,comdat
.Lfunc_end12:
	.size	_ZN9rocsparseL39csr2bsr_nnz_block_dim_equals_one_kernelILj256EliEEvT1_21rocsparse_index_base_PKT0_S2_PS3_, .Lfunc_end12-_ZN9rocsparseL39csr2bsr_nnz_block_dim_equals_one_kernelILj256EliEEvT1_21rocsparse_index_base_PKT0_S2_PS3_
                                        ; -- End function
	.set _ZN9rocsparseL39csr2bsr_nnz_block_dim_equals_one_kernelILj256EliEEvT1_21rocsparse_index_base_PKT0_S2_PS3_.num_vgpr, 4
	.set _ZN9rocsparseL39csr2bsr_nnz_block_dim_equals_one_kernelILj256EliEEvT1_21rocsparse_index_base_PKT0_S2_PS3_.num_agpr, 0
	.set _ZN9rocsparseL39csr2bsr_nnz_block_dim_equals_one_kernelILj256EliEEvT1_21rocsparse_index_base_PKT0_S2_PS3_.numbered_sgpr, 11
	.set _ZN9rocsparseL39csr2bsr_nnz_block_dim_equals_one_kernelILj256EliEEvT1_21rocsparse_index_base_PKT0_S2_PS3_.num_named_barrier, 0
	.set _ZN9rocsparseL39csr2bsr_nnz_block_dim_equals_one_kernelILj256EliEEvT1_21rocsparse_index_base_PKT0_S2_PS3_.private_seg_size, 0
	.set _ZN9rocsparseL39csr2bsr_nnz_block_dim_equals_one_kernelILj256EliEEvT1_21rocsparse_index_base_PKT0_S2_PS3_.uses_vcc, 1
	.set _ZN9rocsparseL39csr2bsr_nnz_block_dim_equals_one_kernelILj256EliEEvT1_21rocsparse_index_base_PKT0_S2_PS3_.uses_flat_scratch, 0
	.set _ZN9rocsparseL39csr2bsr_nnz_block_dim_equals_one_kernelILj256EliEEvT1_21rocsparse_index_base_PKT0_S2_PS3_.has_dyn_sized_stack, 0
	.set _ZN9rocsparseL39csr2bsr_nnz_block_dim_equals_one_kernelILj256EliEEvT1_21rocsparse_index_base_PKT0_S2_PS3_.has_recursion, 0
	.set _ZN9rocsparseL39csr2bsr_nnz_block_dim_equals_one_kernelILj256EliEEvT1_21rocsparse_index_base_PKT0_S2_PS3_.has_indirect_call, 0
	.section	.AMDGPU.csdata,"",@progbits
; Kernel info:
; codeLenInByte = 164
; TotalNumSgprs: 13
; NumVgprs: 4
; ScratchSize: 0
; MemoryBound: 0
; FloatMode: 240
; IeeeMode: 1
; LDSByteSize: 0 bytes/workgroup (compile time only)
; SGPRBlocks: 0
; VGPRBlocks: 0
; NumSGPRsForWavesPerEU: 13
; NumVGPRsForWavesPerEU: 4
; NamedBarCnt: 0
; Occupancy: 16
; WaveLimiterHint : 0
; COMPUTE_PGM_RSRC2:SCRATCH_EN: 0
; COMPUTE_PGM_RSRC2:USER_SGPR: 2
; COMPUTE_PGM_RSRC2:TRAP_HANDLER: 0
; COMPUTE_PGM_RSRC2:TGID_X_EN: 1
; COMPUTE_PGM_RSRC2:TGID_Y_EN: 0
; COMPUTE_PGM_RSRC2:TGID_Z_EN: 0
; COMPUTE_PGM_RSRC2:TIDIG_COMP_CNT: 0
	.section	.text._ZN9rocsparseL46csr2bsr_nnz_wavefront_per_row_multipass_kernelILj256ELj16ELj4EliEEvT3_S1_S1_S1_S1_21rocsparse_index_base_PKT2_PKS1_S2_PS3_,"axG",@progbits,_ZN9rocsparseL46csr2bsr_nnz_wavefront_per_row_multipass_kernelILj256ELj16ELj4EliEEvT3_S1_S1_S1_S1_21rocsparse_index_base_PKT2_PKS1_S2_PS3_,comdat
	.globl	_ZN9rocsparseL46csr2bsr_nnz_wavefront_per_row_multipass_kernelILj256ELj16ELj4EliEEvT3_S1_S1_S1_S1_21rocsparse_index_base_PKT2_PKS1_S2_PS3_ ; -- Begin function _ZN9rocsparseL46csr2bsr_nnz_wavefront_per_row_multipass_kernelILj256ELj16ELj4EliEEvT3_S1_S1_S1_S1_21rocsparse_index_base_PKT2_PKS1_S2_PS3_
	.p2align	8
	.type	_ZN9rocsparseL46csr2bsr_nnz_wavefront_per_row_multipass_kernelILj256ELj16ELj4EliEEvT3_S1_S1_S1_S1_21rocsparse_index_base_PKT2_PKS1_S2_PS3_,@function
_ZN9rocsparseL46csr2bsr_nnz_wavefront_per_row_multipass_kernelILj256ELj16ELj4EliEEvT3_S1_S1_S1_S1_21rocsparse_index_base_PKT2_PKS1_S2_PS3_: ; @_ZN9rocsparseL46csr2bsr_nnz_wavefront_per_row_multipass_kernelILj256ELj16ELj4EliEEvT3_S1_S1_S1_S1_21rocsparse_index_base_PKT2_PKS1_S2_PS3_
; %bb.0:
	s_clause 0x1
	s_load_b128 s[4:7], s[0:1], 0x8
	s_load_b32 s2, s[0:1], 0x0
	s_bfe_u32 s3, ttmp6, 0x4000c
	s_and_b32 s8, ttmp6, 15
	s_add_co_i32 s3, s3, 1
	s_getreg_b32 s9, hwreg(HW_REG_IB_STS2, 6, 4)
	s_mul_i32 s3, ttmp9, s3
	v_dual_mov_b32 v5, 0 :: v_dual_lshrrev_b32 v20, 4, v0
	s_add_co_i32 s8, s8, s3
	s_cmp_eq_u32 s9, 0
	v_bfe_u32 v4, v0, 2, 2
	s_cselect_b32 s3, ttmp9, s8
	s_load_b64 s[8:9], s[0:1], 0x18
	v_lshl_or_b32 v18, s3, 4, v20
	v_mov_b64_e32 v[2:3], 0
	v_mov_b64_e32 v[6:7], 0
	v_lshlrev_b32_e32 v19, 2, v20
	s_mov_b32 s3, 0
	s_wait_kmcnt 0x0
	v_mad_u32 v1, v18, s6, v4
	v_cmp_gt_i32_e32 vcc_lo, s6, v4
	ds_store_b32 v19, v5
	s_wait_dscnt 0x0
	s_barrier_signal -1
	s_barrier_wait -1
	v_cmp_gt_i32_e64 s2, s2, v1
	s_and_b32 s10, vcc_lo, s2
	s_delay_alu instid0(SALU_CYCLE_1)
	s_and_saveexec_b32 s11, s10
	s_cbranch_execz .LBB13_2
; %bb.1:
	global_load_b64 v[4:5], v1, s[8:9] scale_offset
	s_mov_b32 s2, s7
	s_wait_loadcnt 0x0
	v_sub_nc_u64_e64 v[6:7], v[4:5], s[2:3]
.LBB13_2:
	s_or_b32 exec_lo, exec_lo, s11
	s_and_saveexec_b32 s2, s10
	s_cbranch_execz .LBB13_4
; %bb.3:
	global_load_b64 v[2:3], v1, s[8:9] offset:8 scale_offset
	s_wait_xcnt 0x0
	s_mov_b32 s9, 0
	s_mov_b32 s8, s7
	s_wait_loadcnt 0x0
	v_sub_nc_u64_e64 v[2:3], v[2:3], s[8:9]
.LBB13_4:
	s_or_b32 exec_lo, exec_lo, s2
	v_and_b32_e32 v21, 15, v0
	s_cmp_lt_i32 s5, 1
	s_delay_alu instid0(VALU_DEP_1)
	v_cmp_eq_u32_e32 vcc_lo, 0, v21
	s_cbranch_scc1 .LBB13_18
; %bb.5:
	v_mbcnt_lo_u32_b32 v4, -1, 0
	v_dual_mov_b32 v5, 0 :: v_dual_bitop2_b32 v0, 3, v0 bitop3:0x40
	s_abs_i32 s12, s6
	s_load_b64 s[8:9], s[0:1], 0x20
	s_delay_alu instid0(VALU_DEP_2)
	v_dual_lshlrev_b32 v12, 2, v4 :: v_dual_bitop2_b32 v9, 1, v4 bitop3:0x14
	v_xor_b32_e32 v1, 2, v4
	s_cvt_f32_u32 s3, s12
	s_mov_b32 s11, 0
	s_ashr_i32 s6, s6, 31
	v_or_b32_e32 v24, 12, v12
	v_cmp_gt_i32_e64 s2, 32, v1
	v_rcp_iflag_f32_e32 v10, s3
	v_or_b32_e32 v27, 60, v12
	s_mov_b32 s13, s11
	v_dual_mov_b32 v28, 1 :: v_dual_cndmask_b32 v8, v4, v1, s2
	v_mov_b32_e32 v1, v5
	v_cmp_gt_i32_e64 s2, 32, v9
	s_delay_alu instid0(TRANS32_DEP_1) | instskip(NEXT) | instid1(VALU_DEP_2)
	v_readfirstlane_b32 s3, v10
	v_dual_lshlrev_b32 v22, 2, v8 :: v_dual_cndmask_b32 v8, v4, v9, s2
	v_xor_b32_e32 v9, 4, v4
	v_xor_b32_e32 v11, 8, v4
	s_delay_alu instid0(VALU_DEP_3) | instskip(NEXT) | instid1(VALU_DEP_2)
	v_lshlrev_b32_e32 v23, 2, v8
	v_cmp_gt_i32_e64 s2, 32, v11
	s_delay_alu instid0(VALU_DEP_1) | instskip(NEXT) | instid1(VALU_DEP_1)
	v_cndmask_b32_e64 v10, v4, v11, s2
	v_lshlrev_b32_e32 v25, 2, v10
	v_cmp_gt_i32_e64 s2, 32, v9
	s_delay_alu instid0(VALU_DEP_1) | instskip(SKIP_3) | instid1(SALU_CYCLE_1)
	v_cndmask_b32_e64 v4, v4, v9, s2
	s_mul_f32 s2, s3, 0x4f7ffffe
	s_sub_co_i32 s3, 0, s12
	v_mov_b64_e32 v[8:9], 0
	s_cvt_u32_f32 s2, s2
	v_lshlrev_b32_e32 v26, 2, v4
	s_delay_alu instid0(SALU_CYCLE_2) | instskip(NEXT) | instid1(SALU_CYCLE_1)
	s_mul_i32 s3, s3, s2
	s_mul_hi_u32 s3, s2, s3
	s_delay_alu instid0(SALU_CYCLE_1)
	s_add_co_i32 s10, s2, s3
	s_branch .LBB13_7
.LBB13_6:                               ;   in Loop: Header=BB13_7 Depth=1
	s_or_b32 exec_lo, exec_lo, s2
	ds_bpermute_b32 v4, v25, v29
	s_wait_dscnt 0x0
	v_min_i32_e32 v4, v4, v29
	ds_bpermute_b32 v8, v26, v4
	s_wait_dscnt 0x0
	v_min_i32_e32 v4, v8, v4
	;; [unrolled: 3-line block ×4, first 2 shown]
	ds_bpermute_b32 v8, v27, v4
	s_wait_dscnt 0x0
	v_cmp_le_i32_e64 s2, s5, v8
	v_ashrrev_i32_e32 v9, 31, v8
	s_or_b32 s13, s2, s13
	s_delay_alu instid0(SALU_CYCLE_1)
	s_and_not1_b32 exec_lo, exec_lo, s13
	s_cbranch_execz .LBB13_17
.LBB13_7:                               ; =>This Loop Header: Depth=1
                                        ;     Child Loop BB13_10 Depth 2
	v_add_nc_u64_e32 v[6:7], v[6:7], v[0:1]
	v_mov_b64_e32 v[12:13], v[2:3]
	v_mov_b32_e32 v29, s5
	s_mov_b32 s14, exec_lo
	ds_store_b8 v20, v5 offset:64
	s_wait_dscnt 0x0
	v_cmpx_lt_i64_e64 v[6:7], v[2:3]
	s_cbranch_execz .LBB13_15
; %bb.8:                                ;   in Loop: Header=BB13_7 Depth=1
	v_mov_b64_e32 v[12:13], v[2:3]
	s_wait_kmcnt 0x0
	v_lshl_add_u64 v[10:11], v[6:7], 2, s[8:9]
	v_mov_b32_e32 v29, s5
	s_mov_b32 s15, 0
	s_branch .LBB13_10
.LBB13_9:                               ;   in Loop: Header=BB13_10 Depth=2
	s_or_b32 exec_lo, exec_lo, s3
	v_add_nc_u64_e32 v[6:7], 4, v[6:7]
	s_xor_b32 s2, s2, -1
	v_add_nc_u64_e32 v[10:11], 16, v[10:11]
	s_delay_alu instid0(VALU_DEP_2) | instskip(SKIP_1) | instid1(SALU_CYCLE_1)
	v_cmp_ge_i64_e64 s3, v[6:7], v[2:3]
	s_or_b32 s2, s2, s3
	s_and_b32 s2, exec_lo, s2
	s_delay_alu instid0(SALU_CYCLE_1) | instskip(NEXT) | instid1(SALU_CYCLE_1)
	s_or_b32 s15, s2, s15
	s_and_not1_b32 exec_lo, exec_lo, s15
	s_cbranch_execz .LBB13_14
.LBB13_10:                              ;   Parent Loop BB13_7 Depth=1
                                        ; =>  This Inner Loop Header: Depth=2
	global_load_b32 v4, v[10:11], off
	s_wait_loadcnt 0x0
	v_subrev_nc_u32_e32 v16, s7, v4
	s_delay_alu instid0(VALU_DEP_1) | instskip(NEXT) | instid1(VALU_DEP_1)
	v_sub_nc_u32_e32 v4, 0, v16
	v_max_i32_e32 v4, v16, v4
	s_delay_alu instid0(VALU_DEP_1) | instskip(NEXT) | instid1(VALU_DEP_1)
	v_mul_u64_e32 v[14:15], s[10:11], v[4:5]
	v_mul_lo_u32 v14, v15, s12
	s_delay_alu instid0(VALU_DEP_1) | instskip(NEXT) | instid1(VALU_DEP_1)
	v_dual_sub_nc_u32 v4, v4, v14 :: v_dual_add_nc_u32 v14, 1, v15
	v_cmp_le_u32_e64 s2, s12, v4
	s_delay_alu instid0(VALU_DEP_1) | instskip(SKIP_1) | instid1(VALU_DEP_1)
	v_dual_cndmask_b32 v14, v15, v14, s2 :: v_dual_ashrrev_i32 v15, 31, v16
	v_subrev_nc_u32_e32 v17, s12, v4
	v_dual_add_nc_u32 v16, 1, v14 :: v_dual_cndmask_b32 v4, v4, v17, s2
	s_delay_alu instid0(VALU_DEP_1) | instskip(NEXT) | instid1(VALU_DEP_1)
	v_cmp_le_u32_e64 s2, s12, v4
	v_dual_cndmask_b32 v4, v14, v16, s2 :: v_dual_bitop2_b32 v15, s6, v15 bitop3:0x14
	s_delay_alu instid0(VALU_DEP_1) | instskip(NEXT) | instid1(VALU_DEP_1)
	v_xor_b32_e32 v4, v4, v15
	v_sub_nc_u32_e32 v16, v4, v15
	v_mov_b64_e32 v[14:15], v[12:13]
	s_delay_alu instid0(VALU_DEP_2) | instskip(NEXT) | instid1(VALU_DEP_1)
	v_ashrrev_i32_e32 v17, 31, v16
	v_cmp_eq_u64_e64 s2, v[8:9], v[16:17]
	v_cmp_ne_u64_e64 s3, v[8:9], v[16:17]
	s_wait_xcnt 0x0
	s_and_saveexec_b32 s16, s3
	s_delay_alu instid0(SALU_CYCLE_1)
	s_xor_b32 s3, exec_lo, s16
; %bb.11:                               ;   in Loop: Header=BB13_10 Depth=2
	v_min_i32_e32 v29, v16, v29
                                        ; implicit-def: $vgpr14_vgpr15
; %bb.12:                               ;   in Loop: Header=BB13_10 Depth=2
	s_or_saveexec_b32 s3, s3
	v_mov_b64_e32 v[12:13], v[6:7]
	s_xor_b32 exec_lo, exec_lo, s3
	s_cbranch_execz .LBB13_9
; %bb.13:                               ;   in Loop: Header=BB13_10 Depth=2
	v_mov_b64_e32 v[12:13], v[14:15]
	ds_store_b8 v20, v28 offset:64
	s_branch .LBB13_9
.LBB13_14:                              ;   in Loop: Header=BB13_7 Depth=1
	s_or_b32 exec_lo, exec_lo, s15
.LBB13_15:                              ;   in Loop: Header=BB13_7 Depth=1
	s_delay_alu instid0(SALU_CYCLE_1)
	s_or_b32 exec_lo, exec_lo, s14
	ds_bpermute_b32 v6, v22, v12
	ds_bpermute_b32 v7, v22, v13
	s_wait_dscnt 0x0
	ds_load_u8 v4, v20 offset:64
	v_min_i64 v[6:7], v[6:7], v[12:13]
	s_wait_dscnt 0x0
	v_and_b32_e32 v4, 1, v4
	s_delay_alu instid0(VALU_DEP_1)
	v_cmp_eq_u32_e64 s2, 1, v4
	s_and_b32 s3, vcc_lo, s2
	ds_bpermute_b32 v8, v23, v6
	ds_bpermute_b32 v9, v23, v7
	s_wait_dscnt 0x0
	v_min_i64 v[6:7], v[8:9], v[6:7]
	ds_bpermute_b32 v6, v24, v6
	ds_bpermute_b32 v7, v24, v7
	s_and_saveexec_b32 s2, s3
	s_cbranch_execz .LBB13_6
; %bb.16:                               ;   in Loop: Header=BB13_7 Depth=1
	ds_load_b32 v4, v19
	s_wait_dscnt 0x0
	v_add_nc_u32_e32 v4, 1, v4
	ds_store_b32 v19, v4
	s_branch .LBB13_6
.LBB13_17:
	s_or_b32 exec_lo, exec_lo, s13
.LBB13_18:
	s_delay_alu instid0(SALU_CYCLE_1)
	s_mov_b32 s2, exec_lo
	v_cmpx_eq_u32_e32 0, v21
	s_cbranch_execz .LBB13_21
; %bb.19:
	s_clause 0x1
	s_load_b32 s5, s[0:1], 0x28
	s_load_b64 s[2:3], s[0:1], 0x30
	v_cmp_gt_u32_e32 vcc_lo, s4, v18
	s_wait_kmcnt 0x0
	v_dual_mov_b32 v1, 0 :: v_dual_mov_b32 v0, s5
	global_store_b64 v1, v[0:1], s[2:3]
	s_wait_xcnt 0x0
	s_and_b32 exec_lo, exec_lo, vcc_lo
	s_cbranch_execz .LBB13_21
; %bb.20:
	ds_load_b32 v0, v19
	s_wait_dscnt 0x0
	v_ashrrev_i32_e32 v1, 31, v0
	global_store_b64 v18, v[0:1], s[2:3] offset:8 scale_offset
.LBB13_21:
	s_endpgm
	.section	.rodata,"a",@progbits
	.p2align	6, 0x0
	.amdhsa_kernel _ZN9rocsparseL46csr2bsr_nnz_wavefront_per_row_multipass_kernelILj256ELj16ELj4EliEEvT3_S1_S1_S1_S1_21rocsparse_index_base_PKT2_PKS1_S2_PS3_
		.amdhsa_group_segment_fixed_size 80
		.amdhsa_private_segment_fixed_size 0
		.amdhsa_kernarg_size 56
		.amdhsa_user_sgpr_count 2
		.amdhsa_user_sgpr_dispatch_ptr 0
		.amdhsa_user_sgpr_queue_ptr 0
		.amdhsa_user_sgpr_kernarg_segment_ptr 1
		.amdhsa_user_sgpr_dispatch_id 0
		.amdhsa_user_sgpr_kernarg_preload_length 0
		.amdhsa_user_sgpr_kernarg_preload_offset 0
		.amdhsa_user_sgpr_private_segment_size 0
		.amdhsa_wavefront_size32 1
		.amdhsa_uses_dynamic_stack 0
		.amdhsa_enable_private_segment 0
		.amdhsa_system_sgpr_workgroup_id_x 1
		.amdhsa_system_sgpr_workgroup_id_y 0
		.amdhsa_system_sgpr_workgroup_id_z 0
		.amdhsa_system_sgpr_workgroup_info 0
		.amdhsa_system_vgpr_workitem_id 0
		.amdhsa_next_free_vgpr 30
		.amdhsa_next_free_sgpr 17
		.amdhsa_named_barrier_count 0
		.amdhsa_reserve_vcc 1
		.amdhsa_float_round_mode_32 0
		.amdhsa_float_round_mode_16_64 0
		.amdhsa_float_denorm_mode_32 3
		.amdhsa_float_denorm_mode_16_64 3
		.amdhsa_fp16_overflow 0
		.amdhsa_memory_ordered 1
		.amdhsa_forward_progress 1
		.amdhsa_inst_pref_size 10
		.amdhsa_round_robin_scheduling 0
		.amdhsa_exception_fp_ieee_invalid_op 0
		.amdhsa_exception_fp_denorm_src 0
		.amdhsa_exception_fp_ieee_div_zero 0
		.amdhsa_exception_fp_ieee_overflow 0
		.amdhsa_exception_fp_ieee_underflow 0
		.amdhsa_exception_fp_ieee_inexact 0
		.amdhsa_exception_int_div_zero 0
	.end_amdhsa_kernel
	.section	.text._ZN9rocsparseL46csr2bsr_nnz_wavefront_per_row_multipass_kernelILj256ELj16ELj4EliEEvT3_S1_S1_S1_S1_21rocsparse_index_base_PKT2_PKS1_S2_PS3_,"axG",@progbits,_ZN9rocsparseL46csr2bsr_nnz_wavefront_per_row_multipass_kernelILj256ELj16ELj4EliEEvT3_S1_S1_S1_S1_21rocsparse_index_base_PKT2_PKS1_S2_PS3_,comdat
.Lfunc_end13:
	.size	_ZN9rocsparseL46csr2bsr_nnz_wavefront_per_row_multipass_kernelILj256ELj16ELj4EliEEvT3_S1_S1_S1_S1_21rocsparse_index_base_PKT2_PKS1_S2_PS3_, .Lfunc_end13-_ZN9rocsparseL46csr2bsr_nnz_wavefront_per_row_multipass_kernelILj256ELj16ELj4EliEEvT3_S1_S1_S1_S1_21rocsparse_index_base_PKT2_PKS1_S2_PS3_
                                        ; -- End function
	.set _ZN9rocsparseL46csr2bsr_nnz_wavefront_per_row_multipass_kernelILj256ELj16ELj4EliEEvT3_S1_S1_S1_S1_21rocsparse_index_base_PKT2_PKS1_S2_PS3_.num_vgpr, 30
	.set _ZN9rocsparseL46csr2bsr_nnz_wavefront_per_row_multipass_kernelILj256ELj16ELj4EliEEvT3_S1_S1_S1_S1_21rocsparse_index_base_PKT2_PKS1_S2_PS3_.num_agpr, 0
	.set _ZN9rocsparseL46csr2bsr_nnz_wavefront_per_row_multipass_kernelILj256ELj16ELj4EliEEvT3_S1_S1_S1_S1_21rocsparse_index_base_PKT2_PKS1_S2_PS3_.numbered_sgpr, 17
	.set _ZN9rocsparseL46csr2bsr_nnz_wavefront_per_row_multipass_kernelILj256ELj16ELj4EliEEvT3_S1_S1_S1_S1_21rocsparse_index_base_PKT2_PKS1_S2_PS3_.num_named_barrier, 0
	.set _ZN9rocsparseL46csr2bsr_nnz_wavefront_per_row_multipass_kernelILj256ELj16ELj4EliEEvT3_S1_S1_S1_S1_21rocsparse_index_base_PKT2_PKS1_S2_PS3_.private_seg_size, 0
	.set _ZN9rocsparseL46csr2bsr_nnz_wavefront_per_row_multipass_kernelILj256ELj16ELj4EliEEvT3_S1_S1_S1_S1_21rocsparse_index_base_PKT2_PKS1_S2_PS3_.uses_vcc, 1
	.set _ZN9rocsparseL46csr2bsr_nnz_wavefront_per_row_multipass_kernelILj256ELj16ELj4EliEEvT3_S1_S1_S1_S1_21rocsparse_index_base_PKT2_PKS1_S2_PS3_.uses_flat_scratch, 0
	.set _ZN9rocsparseL46csr2bsr_nnz_wavefront_per_row_multipass_kernelILj256ELj16ELj4EliEEvT3_S1_S1_S1_S1_21rocsparse_index_base_PKT2_PKS1_S2_PS3_.has_dyn_sized_stack, 0
	.set _ZN9rocsparseL46csr2bsr_nnz_wavefront_per_row_multipass_kernelILj256ELj16ELj4EliEEvT3_S1_S1_S1_S1_21rocsparse_index_base_PKT2_PKS1_S2_PS3_.has_recursion, 0
	.set _ZN9rocsparseL46csr2bsr_nnz_wavefront_per_row_multipass_kernelILj256ELj16ELj4EliEEvT3_S1_S1_S1_S1_21rocsparse_index_base_PKT2_PKS1_S2_PS3_.has_indirect_call, 0
	.section	.AMDGPU.csdata,"",@progbits
; Kernel info:
; codeLenInByte = 1216
; TotalNumSgprs: 19
; NumVgprs: 30
; ScratchSize: 0
; MemoryBound: 0
; FloatMode: 240
; IeeeMode: 1
; LDSByteSize: 80 bytes/workgroup (compile time only)
; SGPRBlocks: 0
; VGPRBlocks: 1
; NumSGPRsForWavesPerEU: 19
; NumVGPRsForWavesPerEU: 30
; NamedBarCnt: 0
; Occupancy: 16
; WaveLimiterHint : 0
; COMPUTE_PGM_RSRC2:SCRATCH_EN: 0
; COMPUTE_PGM_RSRC2:USER_SGPR: 2
; COMPUTE_PGM_RSRC2:TRAP_HANDLER: 0
; COMPUTE_PGM_RSRC2:TGID_X_EN: 1
; COMPUTE_PGM_RSRC2:TGID_Y_EN: 0
; COMPUTE_PGM_RSRC2:TGID_Z_EN: 0
; COMPUTE_PGM_RSRC2:TIDIG_COMP_CNT: 0
	.section	.text._ZN9rocsparseL46csr2bsr_nnz_wavefront_per_row_multipass_kernelILj256ELj64ELj8EliEEvT3_S1_S1_S1_S1_21rocsparse_index_base_PKT2_PKS1_S2_PS3_,"axG",@progbits,_ZN9rocsparseL46csr2bsr_nnz_wavefront_per_row_multipass_kernelILj256ELj64ELj8EliEEvT3_S1_S1_S1_S1_21rocsparse_index_base_PKT2_PKS1_S2_PS3_,comdat
	.globl	_ZN9rocsparseL46csr2bsr_nnz_wavefront_per_row_multipass_kernelILj256ELj64ELj8EliEEvT3_S1_S1_S1_S1_21rocsparse_index_base_PKT2_PKS1_S2_PS3_ ; -- Begin function _ZN9rocsparseL46csr2bsr_nnz_wavefront_per_row_multipass_kernelILj256ELj64ELj8EliEEvT3_S1_S1_S1_S1_21rocsparse_index_base_PKT2_PKS1_S2_PS3_
	.p2align	8
	.type	_ZN9rocsparseL46csr2bsr_nnz_wavefront_per_row_multipass_kernelILj256ELj64ELj8EliEEvT3_S1_S1_S1_S1_21rocsparse_index_base_PKT2_PKS1_S2_PS3_,@function
_ZN9rocsparseL46csr2bsr_nnz_wavefront_per_row_multipass_kernelILj256ELj64ELj8EliEEvT3_S1_S1_S1_S1_21rocsparse_index_base_PKT2_PKS1_S2_PS3_: ; @_ZN9rocsparseL46csr2bsr_nnz_wavefront_per_row_multipass_kernelILj256ELj64ELj8EliEEvT3_S1_S1_S1_S1_21rocsparse_index_base_PKT2_PKS1_S2_PS3_
; %bb.0:
	s_clause 0x1
	s_load_b128 s[4:7], s[0:1], 0x8
	s_load_b32 s2, s[0:1], 0x0
	s_bfe_u32 s3, ttmp6, 0x4000c
	s_and_b32 s8, ttmp6, 15
	s_add_co_i32 s3, s3, 1
	s_getreg_b32 s9, hwreg(HW_REG_IB_STS2, 6, 4)
	s_mul_i32 s3, ttmp9, s3
	v_dual_mov_b32 v5, 0 :: v_dual_lshrrev_b32 v20, 6, v0
	s_add_co_i32 s8, s8, s3
	s_cmp_eq_u32 s9, 0
	v_bfe_u32 v4, v0, 3, 3
	s_cselect_b32 s3, ttmp9, s8
	s_load_b64 s[8:9], s[0:1], 0x18
	v_lshl_or_b32 v18, s3, 2, v20
	v_mov_b64_e32 v[2:3], 0
	v_mov_b64_e32 v[6:7], 0
	v_lshlrev_b32_e32 v19, 2, v20
	s_mov_b32 s3, 0
	s_wait_kmcnt 0x0
	v_mad_u32 v1, v18, s6, v4
	v_cmp_gt_i32_e32 vcc_lo, s6, v4
	ds_store_b32 v19, v5
	s_wait_dscnt 0x0
	s_barrier_signal -1
	s_barrier_wait -1
	v_cmp_gt_i32_e64 s2, s2, v1
	s_and_b32 s10, vcc_lo, s2
	s_delay_alu instid0(SALU_CYCLE_1)
	s_and_saveexec_b32 s11, s10
	s_cbranch_execz .LBB14_2
; %bb.1:
	global_load_b64 v[4:5], v1, s[8:9] scale_offset
	s_mov_b32 s2, s7
	s_wait_loadcnt 0x0
	v_sub_nc_u64_e64 v[6:7], v[4:5], s[2:3]
.LBB14_2:
	s_or_b32 exec_lo, exec_lo, s11
	s_and_saveexec_b32 s2, s10
	s_cbranch_execz .LBB14_4
; %bb.3:
	global_load_b64 v[2:3], v1, s[8:9] offset:8 scale_offset
	s_wait_xcnt 0x0
	s_mov_b32 s9, 0
	s_mov_b32 s8, s7
	s_wait_loadcnt 0x0
	v_sub_nc_u64_e64 v[2:3], v[2:3], s[8:9]
.LBB14_4:
	s_or_b32 exec_lo, exec_lo, s2
	v_and_b32_e32 v21, 63, v0
	s_cmp_lt_i32 s5, 1
	s_delay_alu instid0(VALU_DEP_1)
	v_cmp_eq_u32_e32 vcc_lo, 0, v21
	s_cbranch_scc1 .LBB14_18
; %bb.5:
	v_mbcnt_lo_u32_b32 v8, -1, 0
	v_dual_mov_b32 v1, 0 :: v_dual_bitop2_b32 v4, 7, v0 bitop3:0x40
	s_abs_i32 s12, s6
	s_load_b64 s[8:9], s[0:1], 0x20
	s_delay_alu instid0(VALU_DEP_1) | instskip(SKIP_3) | instid1(VALU_DEP_3)
	v_dual_mov_b32 v5, v1 :: v_dual_bitop2_b32 v0, 4, v8 bitop3:0x14
	v_xor_b32_e32 v10, 1, v8
	v_xor_b32_e32 v9, 2, v8
	s_cvt_f32_u32 s3, s12
	v_cmp_gt_i32_e64 s2, 32, v0
	v_lshl_or_b32 v25, v8, 2, 28
	v_bfrev_b32_e32 v29, 0.5
	v_rcp_iflag_f32_e32 v11, s3
	s_mov_b32 s11, 0
	v_cndmask_b32_e64 v0, v8, v0, s2
	v_cmp_gt_i32_e64 s2, 32, v9
	s_ashr_i32 s6, s6, 31
	s_mov_b32 s13, s11
	v_mov_b32_e32 v30, 1
	v_readfirstlane_b32 s3, v11
	v_cndmask_b32_e64 v9, v8, v9, s2
	v_cmp_gt_i32_e64 s2, 32, v10
	s_delay_alu instid0(VALU_DEP_1) | instskip(NEXT) | instid1(VALU_DEP_1)
	v_dual_lshlrev_b32 v23, 2, v9 :: v_dual_cndmask_b32 v10, v8, v10, s2
	v_dual_lshlrev_b32 v22, 2, v0 :: v_dual_lshlrev_b32 v24, 2, v10
	v_xor_b32_e32 v10, 8, v8
	v_xor_b32_e32 v9, 16, v8
	v_or_b32_e32 v0, 32, v8
	s_delay_alu instid0(VALU_DEP_1) | instskip(NEXT) | instid1(VALU_DEP_1)
	v_cmp_gt_i32_e64 s2, 32, v0
	v_cndmask_b32_e64 v0, v8, v0, s2
	s_delay_alu instid0(VALU_DEP_4) | instskip(NEXT) | instid1(VALU_DEP_1)
	v_cmp_gt_i32_e64 s2, 32, v9
	v_cndmask_b32_e64 v9, v8, v9, s2
	s_delay_alu instid0(VALU_DEP_1) | instskip(SKIP_1) | instid1(VALU_DEP_1)
	v_lshlrev_b32_e32 v27, 2, v9
	v_cmp_gt_i32_e64 s2, 32, v10
	v_cndmask_b32_e64 v10, v8, v10, s2
	s_mul_f32 s2, s3, 0x4f7ffffe
	s_sub_co_i32 s3, 0, s12
	v_mov_b64_e32 v[8:9], 0
	s_delay_alu instid0(SALU_CYCLE_1) | instskip(SKIP_1) | instid1(SALU_CYCLE_2)
	s_cvt_u32_f32 s2, s2
	v_dual_lshlrev_b32 v28, 2, v10 :: v_dual_lshlrev_b32 v26, 2, v0
	s_mul_i32 s3, s3, s2
	s_delay_alu instid0(SALU_CYCLE_1) | instskip(NEXT) | instid1(SALU_CYCLE_1)
	s_mul_hi_u32 s3, s2, s3
	s_add_co_i32 s10, s2, s3
	s_branch .LBB14_7
.LBB14_6:                               ;   in Loop: Header=BB14_7 Depth=1
	s_or_b32 exec_lo, exec_lo, s2
	ds_bpermute_b32 v0, v26, v31
	s_wait_dscnt 0x0
	v_min_i32_e32 v0, v0, v31
	ds_bpermute_b32 v8, v27, v0
	s_wait_dscnt 0x0
	v_min_i32_e32 v0, v8, v0
	;; [unrolled: 3-line block ×6, first 2 shown]
	ds_bpermute_b32 v8, v29, v0
	s_wait_dscnt 0x0
	v_cmp_le_i32_e64 s2, s5, v8
	v_ashrrev_i32_e32 v9, 31, v8
	s_or_b32 s13, s2, s13
	s_delay_alu instid0(SALU_CYCLE_1)
	s_and_not1_b32 exec_lo, exec_lo, s13
	s_cbranch_execz .LBB14_17
.LBB14_7:                               ; =>This Loop Header: Depth=1
                                        ;     Child Loop BB14_10 Depth 2
	v_add_nc_u64_e32 v[6:7], v[6:7], v[4:5]
	v_mov_b64_e32 v[12:13], v[2:3]
	v_mov_b32_e32 v31, s5
	s_mov_b32 s14, exec_lo
	ds_store_b8 v20, v1 offset:16
	s_wait_dscnt 0x0
	v_cmpx_lt_i64_e64 v[6:7], v[2:3]
	s_cbranch_execz .LBB14_15
; %bb.8:                                ;   in Loop: Header=BB14_7 Depth=1
	v_mov_b64_e32 v[12:13], v[2:3]
	s_wait_kmcnt 0x0
	v_lshl_add_u64 v[10:11], v[6:7], 2, s[8:9]
	v_mov_b32_e32 v31, s5
	s_mov_b32 s15, 0
	s_branch .LBB14_10
.LBB14_9:                               ;   in Loop: Header=BB14_10 Depth=2
	s_or_b32 exec_lo, exec_lo, s3
	v_add_nc_u64_e32 v[6:7], 8, v[6:7]
	s_xor_b32 s2, s2, -1
	v_add_nc_u64_e32 v[10:11], 32, v[10:11]
	s_delay_alu instid0(VALU_DEP_2) | instskip(SKIP_1) | instid1(SALU_CYCLE_1)
	v_cmp_ge_i64_e64 s3, v[6:7], v[2:3]
	s_or_b32 s2, s2, s3
	s_and_b32 s2, exec_lo, s2
	s_delay_alu instid0(SALU_CYCLE_1) | instskip(NEXT) | instid1(SALU_CYCLE_1)
	s_or_b32 s15, s2, s15
	s_and_not1_b32 exec_lo, exec_lo, s15
	s_cbranch_execz .LBB14_14
.LBB14_10:                              ;   Parent Loop BB14_7 Depth=1
                                        ; =>  This Inner Loop Header: Depth=2
	global_load_b32 v0, v[10:11], off
	s_wait_loadcnt 0x0
	v_subrev_nc_u32_e32 v16, s7, v0
	s_delay_alu instid0(VALU_DEP_1) | instskip(NEXT) | instid1(VALU_DEP_1)
	v_sub_nc_u32_e32 v0, 0, v16
	v_max_i32_e32 v0, v16, v0
	s_delay_alu instid0(VALU_DEP_1) | instskip(NEXT) | instid1(VALU_DEP_1)
	v_mul_u64_e32 v[14:15], s[10:11], v[0:1]
	v_mul_lo_u32 v14, v15, s12
	s_delay_alu instid0(VALU_DEP_1) | instskip(NEXT) | instid1(VALU_DEP_1)
	v_dual_sub_nc_u32 v0, v0, v14 :: v_dual_add_nc_u32 v14, 1, v15
	v_cmp_le_u32_e64 s2, s12, v0
	s_delay_alu instid0(VALU_DEP_1) | instskip(SKIP_1) | instid1(VALU_DEP_1)
	v_dual_cndmask_b32 v14, v15, v14, s2 :: v_dual_ashrrev_i32 v15, 31, v16
	v_subrev_nc_u32_e32 v17, s12, v0
	v_dual_add_nc_u32 v16, 1, v14 :: v_dual_cndmask_b32 v0, v0, v17, s2
	s_delay_alu instid0(VALU_DEP_1) | instskip(NEXT) | instid1(VALU_DEP_1)
	v_cmp_le_u32_e64 s2, s12, v0
	v_dual_cndmask_b32 v0, v14, v16, s2 :: v_dual_bitop2_b32 v15, s6, v15 bitop3:0x14
	s_delay_alu instid0(VALU_DEP_1) | instskip(NEXT) | instid1(VALU_DEP_1)
	v_xor_b32_e32 v0, v0, v15
	v_sub_nc_u32_e32 v16, v0, v15
	v_mov_b64_e32 v[14:15], v[12:13]
	s_delay_alu instid0(VALU_DEP_2) | instskip(NEXT) | instid1(VALU_DEP_1)
	v_ashrrev_i32_e32 v17, 31, v16
	v_cmp_eq_u64_e64 s2, v[8:9], v[16:17]
	v_cmp_ne_u64_e64 s3, v[8:9], v[16:17]
	s_wait_xcnt 0x0
	s_and_saveexec_b32 s16, s3
	s_delay_alu instid0(SALU_CYCLE_1)
	s_xor_b32 s3, exec_lo, s16
; %bb.11:                               ;   in Loop: Header=BB14_10 Depth=2
	v_min_i32_e32 v31, v16, v31
                                        ; implicit-def: $vgpr14_vgpr15
; %bb.12:                               ;   in Loop: Header=BB14_10 Depth=2
	s_or_saveexec_b32 s3, s3
	v_mov_b64_e32 v[12:13], v[6:7]
	s_xor_b32 exec_lo, exec_lo, s3
	s_cbranch_execz .LBB14_9
; %bb.13:                               ;   in Loop: Header=BB14_10 Depth=2
	v_mov_b64_e32 v[12:13], v[14:15]
	ds_store_b8 v20, v30 offset:16
	s_branch .LBB14_9
.LBB14_14:                              ;   in Loop: Header=BB14_7 Depth=1
	s_or_b32 exec_lo, exec_lo, s15
.LBB14_15:                              ;   in Loop: Header=BB14_7 Depth=1
	s_delay_alu instid0(SALU_CYCLE_1)
	s_or_b32 exec_lo, exec_lo, s14
	ds_bpermute_b32 v6, v22, v12
	ds_bpermute_b32 v7, v22, v13
	s_wait_dscnt 0x0
	ds_load_u8 v0, v20 offset:16
	v_min_i64 v[6:7], v[6:7], v[12:13]
	s_wait_dscnt 0x0
	v_and_b32_e32 v0, 1, v0
	s_delay_alu instid0(VALU_DEP_1)
	v_cmp_eq_u32_e64 s2, 1, v0
	s_and_b32 s3, vcc_lo, s2
	ds_bpermute_b32 v8, v23, v6
	ds_bpermute_b32 v9, v23, v7
	s_wait_dscnt 0x0
	v_min_i64 v[6:7], v[8:9], v[6:7]
	ds_bpermute_b32 v8, v24, v6
	ds_bpermute_b32 v9, v24, v7
	s_wait_dscnt 0x0
	v_min_i64 v[6:7], v[8:9], v[6:7]
	ds_bpermute_b32 v6, v25, v6
	ds_bpermute_b32 v7, v25, v7
	s_and_saveexec_b32 s2, s3
	s_cbranch_execz .LBB14_6
; %bb.16:                               ;   in Loop: Header=BB14_7 Depth=1
	ds_load_b32 v0, v19
	s_wait_dscnt 0x0
	v_add_nc_u32_e32 v0, 1, v0
	ds_store_b32 v19, v0
	s_branch .LBB14_6
.LBB14_17:
	s_or_b32 exec_lo, exec_lo, s13
.LBB14_18:
	s_delay_alu instid0(SALU_CYCLE_1)
	s_mov_b32 s2, exec_lo
	v_cmpx_eq_u32_e32 0, v21
	s_cbranch_execz .LBB14_21
; %bb.19:
	s_clause 0x1
	s_load_b32 s5, s[0:1], 0x28
	s_load_b64 s[2:3], s[0:1], 0x30
	v_cmp_gt_u32_e32 vcc_lo, s4, v18
	s_wait_kmcnt 0x0
	v_dual_mov_b32 v1, 0 :: v_dual_mov_b32 v0, s5
	global_store_b64 v1, v[0:1], s[2:3]
	s_wait_xcnt 0x0
	s_and_b32 exec_lo, exec_lo, vcc_lo
	s_cbranch_execz .LBB14_21
; %bb.20:
	ds_load_b32 v0, v19
	s_wait_dscnt 0x0
	v_ashrrev_i32_e32 v1, 31, v0
	global_store_b64 v18, v[0:1], s[2:3] offset:8 scale_offset
.LBB14_21:
	s_endpgm
	.section	.rodata,"a",@progbits
	.p2align	6, 0x0
	.amdhsa_kernel _ZN9rocsparseL46csr2bsr_nnz_wavefront_per_row_multipass_kernelILj256ELj64ELj8EliEEvT3_S1_S1_S1_S1_21rocsparse_index_base_PKT2_PKS1_S2_PS3_
		.amdhsa_group_segment_fixed_size 20
		.amdhsa_private_segment_fixed_size 0
		.amdhsa_kernarg_size 56
		.amdhsa_user_sgpr_count 2
		.amdhsa_user_sgpr_dispatch_ptr 0
		.amdhsa_user_sgpr_queue_ptr 0
		.amdhsa_user_sgpr_kernarg_segment_ptr 1
		.amdhsa_user_sgpr_dispatch_id 0
		.amdhsa_user_sgpr_kernarg_preload_length 0
		.amdhsa_user_sgpr_kernarg_preload_offset 0
		.amdhsa_user_sgpr_private_segment_size 0
		.amdhsa_wavefront_size32 1
		.amdhsa_uses_dynamic_stack 0
		.amdhsa_enable_private_segment 0
		.amdhsa_system_sgpr_workgroup_id_x 1
		.amdhsa_system_sgpr_workgroup_id_y 0
		.amdhsa_system_sgpr_workgroup_id_z 0
		.amdhsa_system_sgpr_workgroup_info 0
		.amdhsa_system_vgpr_workitem_id 0
		.amdhsa_next_free_vgpr 32
		.amdhsa_next_free_sgpr 17
		.amdhsa_named_barrier_count 0
		.amdhsa_reserve_vcc 1
		.amdhsa_float_round_mode_32 0
		.amdhsa_float_round_mode_16_64 0
		.amdhsa_float_denorm_mode_32 3
		.amdhsa_float_denorm_mode_16_64 3
		.amdhsa_fp16_overflow 0
		.amdhsa_memory_ordered 1
		.amdhsa_forward_progress 1
		.amdhsa_inst_pref_size 11
		.amdhsa_round_robin_scheduling 0
		.amdhsa_exception_fp_ieee_invalid_op 0
		.amdhsa_exception_fp_denorm_src 0
		.amdhsa_exception_fp_ieee_div_zero 0
		.amdhsa_exception_fp_ieee_overflow 0
		.amdhsa_exception_fp_ieee_underflow 0
		.amdhsa_exception_fp_ieee_inexact 0
		.amdhsa_exception_int_div_zero 0
	.end_amdhsa_kernel
	.section	.text._ZN9rocsparseL46csr2bsr_nnz_wavefront_per_row_multipass_kernelILj256ELj64ELj8EliEEvT3_S1_S1_S1_S1_21rocsparse_index_base_PKT2_PKS1_S2_PS3_,"axG",@progbits,_ZN9rocsparseL46csr2bsr_nnz_wavefront_per_row_multipass_kernelILj256ELj64ELj8EliEEvT3_S1_S1_S1_S1_21rocsparse_index_base_PKT2_PKS1_S2_PS3_,comdat
.Lfunc_end14:
	.size	_ZN9rocsparseL46csr2bsr_nnz_wavefront_per_row_multipass_kernelILj256ELj64ELj8EliEEvT3_S1_S1_S1_S1_21rocsparse_index_base_PKT2_PKS1_S2_PS3_, .Lfunc_end14-_ZN9rocsparseL46csr2bsr_nnz_wavefront_per_row_multipass_kernelILj256ELj64ELj8EliEEvT3_S1_S1_S1_S1_21rocsparse_index_base_PKT2_PKS1_S2_PS3_
                                        ; -- End function
	.set _ZN9rocsparseL46csr2bsr_nnz_wavefront_per_row_multipass_kernelILj256ELj64ELj8EliEEvT3_S1_S1_S1_S1_21rocsparse_index_base_PKT2_PKS1_S2_PS3_.num_vgpr, 32
	.set _ZN9rocsparseL46csr2bsr_nnz_wavefront_per_row_multipass_kernelILj256ELj64ELj8EliEEvT3_S1_S1_S1_S1_21rocsparse_index_base_PKT2_PKS1_S2_PS3_.num_agpr, 0
	.set _ZN9rocsparseL46csr2bsr_nnz_wavefront_per_row_multipass_kernelILj256ELj64ELj8EliEEvT3_S1_S1_S1_S1_21rocsparse_index_base_PKT2_PKS1_S2_PS3_.numbered_sgpr, 17
	.set _ZN9rocsparseL46csr2bsr_nnz_wavefront_per_row_multipass_kernelILj256ELj64ELj8EliEEvT3_S1_S1_S1_S1_21rocsparse_index_base_PKT2_PKS1_S2_PS3_.num_named_barrier, 0
	.set _ZN9rocsparseL46csr2bsr_nnz_wavefront_per_row_multipass_kernelILj256ELj64ELj8EliEEvT3_S1_S1_S1_S1_21rocsparse_index_base_PKT2_PKS1_S2_PS3_.private_seg_size, 0
	.set _ZN9rocsparseL46csr2bsr_nnz_wavefront_per_row_multipass_kernelILj256ELj64ELj8EliEEvT3_S1_S1_S1_S1_21rocsparse_index_base_PKT2_PKS1_S2_PS3_.uses_vcc, 1
	.set _ZN9rocsparseL46csr2bsr_nnz_wavefront_per_row_multipass_kernelILj256ELj64ELj8EliEEvT3_S1_S1_S1_S1_21rocsparse_index_base_PKT2_PKS1_S2_PS3_.uses_flat_scratch, 0
	.set _ZN9rocsparseL46csr2bsr_nnz_wavefront_per_row_multipass_kernelILj256ELj64ELj8EliEEvT3_S1_S1_S1_S1_21rocsparse_index_base_PKT2_PKS1_S2_PS3_.has_dyn_sized_stack, 0
	.set _ZN9rocsparseL46csr2bsr_nnz_wavefront_per_row_multipass_kernelILj256ELj64ELj8EliEEvT3_S1_S1_S1_S1_21rocsparse_index_base_PKT2_PKS1_S2_PS3_.has_recursion, 0
	.set _ZN9rocsparseL46csr2bsr_nnz_wavefront_per_row_multipass_kernelILj256ELj64ELj8EliEEvT3_S1_S1_S1_S1_21rocsparse_index_base_PKT2_PKS1_S2_PS3_.has_indirect_call, 0
	.section	.AMDGPU.csdata,"",@progbits
; Kernel info:
; codeLenInByte = 1332
; TotalNumSgprs: 19
; NumVgprs: 32
; ScratchSize: 0
; MemoryBound: 0
; FloatMode: 240
; IeeeMode: 1
; LDSByteSize: 20 bytes/workgroup (compile time only)
; SGPRBlocks: 0
; VGPRBlocks: 1
; NumSGPRsForWavesPerEU: 19
; NumVGPRsForWavesPerEU: 32
; NamedBarCnt: 0
; Occupancy: 16
; WaveLimiterHint : 0
; COMPUTE_PGM_RSRC2:SCRATCH_EN: 0
; COMPUTE_PGM_RSRC2:USER_SGPR: 2
; COMPUTE_PGM_RSRC2:TRAP_HANDLER: 0
; COMPUTE_PGM_RSRC2:TGID_X_EN: 1
; COMPUTE_PGM_RSRC2:TGID_Y_EN: 0
; COMPUTE_PGM_RSRC2:TGID_Z_EN: 0
; COMPUTE_PGM_RSRC2:TIDIG_COMP_CNT: 0
	.section	.text._ZN9rocsparseL46csr2bsr_nnz_wavefront_per_row_multipass_kernelILj256ELj32ELj8EliEEvT3_S1_S1_S1_S1_21rocsparse_index_base_PKT2_PKS1_S2_PS3_,"axG",@progbits,_ZN9rocsparseL46csr2bsr_nnz_wavefront_per_row_multipass_kernelILj256ELj32ELj8EliEEvT3_S1_S1_S1_S1_21rocsparse_index_base_PKT2_PKS1_S2_PS3_,comdat
	.globl	_ZN9rocsparseL46csr2bsr_nnz_wavefront_per_row_multipass_kernelILj256ELj32ELj8EliEEvT3_S1_S1_S1_S1_21rocsparse_index_base_PKT2_PKS1_S2_PS3_ ; -- Begin function _ZN9rocsparseL46csr2bsr_nnz_wavefront_per_row_multipass_kernelILj256ELj32ELj8EliEEvT3_S1_S1_S1_S1_21rocsparse_index_base_PKT2_PKS1_S2_PS3_
	.p2align	8
	.type	_ZN9rocsparseL46csr2bsr_nnz_wavefront_per_row_multipass_kernelILj256ELj32ELj8EliEEvT3_S1_S1_S1_S1_21rocsparse_index_base_PKT2_PKS1_S2_PS3_,@function
_ZN9rocsparseL46csr2bsr_nnz_wavefront_per_row_multipass_kernelILj256ELj32ELj8EliEEvT3_S1_S1_S1_S1_21rocsparse_index_base_PKT2_PKS1_S2_PS3_: ; @_ZN9rocsparseL46csr2bsr_nnz_wavefront_per_row_multipass_kernelILj256ELj32ELj8EliEEvT3_S1_S1_S1_S1_21rocsparse_index_base_PKT2_PKS1_S2_PS3_
; %bb.0:
	s_clause 0x1
	s_load_b128 s[4:7], s[0:1], 0x8
	s_load_b32 s2, s[0:1], 0x0
	s_bfe_u32 s3, ttmp6, 0x4000c
	s_and_b32 s8, ttmp6, 15
	s_add_co_i32 s3, s3, 1
	s_getreg_b32 s9, hwreg(HW_REG_IB_STS2, 6, 4)
	s_mul_i32 s3, ttmp9, s3
	v_dual_mov_b32 v5, 0 :: v_dual_lshrrev_b32 v20, 5, v0
	s_add_co_i32 s8, s8, s3
	s_cmp_eq_u32 s9, 0
	v_bfe_u32 v4, v0, 2, 3
	s_cselect_b32 s3, ttmp9, s8
	s_load_b64 s[8:9], s[0:1], 0x18
	v_lshl_or_b32 v18, s3, 3, v20
	v_mov_b64_e32 v[2:3], 0
	v_mov_b64_e32 v[6:7], 0
	v_lshlrev_b32_e32 v19, 2, v20
	s_mov_b32 s3, 0
	s_wait_kmcnt 0x0
	v_mad_u32 v1, v18, s6, v4
	v_cmp_gt_i32_e32 vcc_lo, s6, v4
	ds_store_b32 v19, v5
	s_wait_dscnt 0x0
	s_barrier_signal -1
	s_barrier_wait -1
	v_cmp_gt_i32_e64 s2, s2, v1
	s_and_b32 s10, vcc_lo, s2
	s_delay_alu instid0(SALU_CYCLE_1)
	s_and_saveexec_b32 s11, s10
	s_cbranch_execz .LBB15_2
; %bb.1:
	global_load_b64 v[4:5], v1, s[8:9] scale_offset
	s_mov_b32 s2, s7
	s_wait_loadcnt 0x0
	v_sub_nc_u64_e64 v[6:7], v[4:5], s[2:3]
.LBB15_2:
	s_or_b32 exec_lo, exec_lo, s11
	s_and_saveexec_b32 s2, s10
	s_cbranch_execz .LBB15_4
; %bb.3:
	global_load_b64 v[2:3], v1, s[8:9] offset:8 scale_offset
	s_wait_xcnt 0x0
	s_mov_b32 s9, 0
	s_mov_b32 s8, s7
	s_wait_loadcnt 0x0
	v_sub_nc_u64_e64 v[2:3], v[2:3], s[8:9]
.LBB15_4:
	s_or_b32 exec_lo, exec_lo, s2
	v_and_b32_e32 v21, 31, v0
	s_cmp_lt_i32 s5, 1
	s_delay_alu instid0(VALU_DEP_1)
	v_cmp_eq_u32_e32 vcc_lo, 0, v21
	s_cbranch_scc1 .LBB15_18
; %bb.5:
	v_mbcnt_lo_u32_b32 v4, -1, 0
	v_dual_mov_b32 v5, 0 :: v_dual_bitop2_b32 v0, 3, v0 bitop3:0x40
	s_abs_i32 s12, s6
	s_load_b64 s[8:9], s[0:1], 0x20
	s_delay_alu instid0(VALU_DEP_2)
	v_xor_b32_e32 v1, 2, v4
	s_cvt_f32_u32 s3, s12
	v_lshl_or_b32 v24, v4, 2, 12
	v_mov_b32_e32 v28, 0x7c
	s_mov_b32 s11, 0
	v_cmp_gt_i32_e64 s2, 32, v1
	v_xor_b32_e32 v8, 1, v4
	v_rcp_iflag_f32_e32 v11, s3
	s_ashr_i32 s6, s6, 31
	s_mov_b32 s13, s11
	v_cndmask_b32_e64 v9, v4, v1, s2
	v_cmp_gt_i32_e64 s2, 32, v8
	v_dual_mov_b32 v29, 1 :: v_dual_mov_b32 v1, v5
	s_delay_alu instid0(TRANS32_DEP_1) | instskip(NEXT) | instid1(VALU_DEP_4)
	v_readfirstlane_b32 s3, v11
	v_dual_lshlrev_b32 v22, 2, v9 :: v_dual_bitop2_b32 v9, 4, v4 bitop3:0x14
	v_xor_b32_e32 v10, 16, v4
	v_cndmask_b32_e64 v8, v4, v8, s2
	s_delay_alu instid0(VALU_DEP_2) | instskip(NEXT) | instid1(VALU_DEP_1)
	v_cmp_gt_i32_e64 s2, 32, v10
	v_dual_lshlrev_b32 v23, 2, v8 :: v_dual_cndmask_b32 v10, v4, v10, s2
	s_delay_alu instid0(VALU_DEP_1) | instskip(NEXT) | instid1(VALU_DEP_1)
	v_dual_lshlrev_b32 v25, 2, v10 :: v_dual_bitop2_b32 v8, 8, v4 bitop3:0x14
	v_cmp_gt_i32_e64 s2, 32, v8
	s_delay_alu instid0(VALU_DEP_1) | instskip(SKIP_1) | instid1(VALU_DEP_1)
	v_cndmask_b32_e64 v8, v4, v8, s2
	v_cmp_gt_i32_e64 s2, 32, v9
	v_cndmask_b32_e64 v9, v4, v9, s2
	s_mul_f32 s2, s3, 0x4f7ffffe
	s_sub_co_i32 s3, 0, s12
	s_delay_alu instid0(SALU_CYCLE_2) | instskip(NEXT) | instid1(VALU_DEP_1)
	s_cvt_u32_f32 s2, s2
	v_dual_lshlrev_b32 v27, 2, v9 :: v_dual_lshlrev_b32 v26, 2, v8
	v_mov_b64_e32 v[8:9], 0
	s_delay_alu instid0(SALU_CYCLE_1) | instskip(NEXT) | instid1(SALU_CYCLE_1)
	s_mul_i32 s3, s3, s2
	s_mul_hi_u32 s3, s2, s3
	s_delay_alu instid0(SALU_CYCLE_1)
	s_add_co_i32 s10, s2, s3
	s_branch .LBB15_7
.LBB15_6:                               ;   in Loop: Header=BB15_7 Depth=1
	s_or_b32 exec_lo, exec_lo, s2
	ds_bpermute_b32 v4, v25, v30
	s_wait_dscnt 0x0
	v_min_i32_e32 v4, v4, v30
	ds_bpermute_b32 v8, v26, v4
	s_wait_dscnt 0x0
	v_min_i32_e32 v4, v8, v4
	;; [unrolled: 3-line block ×5, first 2 shown]
	ds_bpermute_b32 v8, v28, v4
	s_wait_dscnt 0x0
	v_cmp_le_i32_e64 s2, s5, v8
	v_ashrrev_i32_e32 v9, 31, v8
	s_or_b32 s13, s2, s13
	s_delay_alu instid0(SALU_CYCLE_1)
	s_and_not1_b32 exec_lo, exec_lo, s13
	s_cbranch_execz .LBB15_17
.LBB15_7:                               ; =>This Loop Header: Depth=1
                                        ;     Child Loop BB15_10 Depth 2
	v_add_nc_u64_e32 v[6:7], v[6:7], v[0:1]
	v_mov_b64_e32 v[12:13], v[2:3]
	v_mov_b32_e32 v30, s5
	s_mov_b32 s14, exec_lo
	ds_store_b8 v20, v5 offset:32
	s_wait_dscnt 0x0
	v_cmpx_lt_i64_e64 v[6:7], v[2:3]
	s_cbranch_execz .LBB15_15
; %bb.8:                                ;   in Loop: Header=BB15_7 Depth=1
	v_mov_b64_e32 v[12:13], v[2:3]
	s_wait_kmcnt 0x0
	v_lshl_add_u64 v[10:11], v[6:7], 2, s[8:9]
	v_mov_b32_e32 v30, s5
	s_mov_b32 s15, 0
	s_branch .LBB15_10
.LBB15_9:                               ;   in Loop: Header=BB15_10 Depth=2
	s_or_b32 exec_lo, exec_lo, s3
	v_add_nc_u64_e32 v[6:7], 4, v[6:7]
	s_xor_b32 s2, s2, -1
	v_add_nc_u64_e32 v[10:11], 16, v[10:11]
	s_delay_alu instid0(VALU_DEP_2) | instskip(SKIP_1) | instid1(SALU_CYCLE_1)
	v_cmp_ge_i64_e64 s3, v[6:7], v[2:3]
	s_or_b32 s2, s2, s3
	s_and_b32 s2, exec_lo, s2
	s_delay_alu instid0(SALU_CYCLE_1) | instskip(NEXT) | instid1(SALU_CYCLE_1)
	s_or_b32 s15, s2, s15
	s_and_not1_b32 exec_lo, exec_lo, s15
	s_cbranch_execz .LBB15_14
.LBB15_10:                              ;   Parent Loop BB15_7 Depth=1
                                        ; =>  This Inner Loop Header: Depth=2
	global_load_b32 v4, v[10:11], off
	s_wait_loadcnt 0x0
	v_subrev_nc_u32_e32 v16, s7, v4
	s_delay_alu instid0(VALU_DEP_1) | instskip(NEXT) | instid1(VALU_DEP_1)
	v_sub_nc_u32_e32 v4, 0, v16
	v_max_i32_e32 v4, v16, v4
	s_delay_alu instid0(VALU_DEP_1) | instskip(NEXT) | instid1(VALU_DEP_1)
	v_mul_u64_e32 v[14:15], s[10:11], v[4:5]
	v_mul_lo_u32 v14, v15, s12
	s_delay_alu instid0(VALU_DEP_1) | instskip(NEXT) | instid1(VALU_DEP_1)
	v_dual_sub_nc_u32 v4, v4, v14 :: v_dual_add_nc_u32 v14, 1, v15
	v_cmp_le_u32_e64 s2, s12, v4
	s_delay_alu instid0(VALU_DEP_1) | instskip(SKIP_1) | instid1(VALU_DEP_1)
	v_dual_cndmask_b32 v14, v15, v14, s2 :: v_dual_ashrrev_i32 v15, 31, v16
	v_subrev_nc_u32_e32 v17, s12, v4
	v_dual_add_nc_u32 v16, 1, v14 :: v_dual_cndmask_b32 v4, v4, v17, s2
	s_delay_alu instid0(VALU_DEP_1) | instskip(NEXT) | instid1(VALU_DEP_1)
	v_cmp_le_u32_e64 s2, s12, v4
	v_dual_cndmask_b32 v4, v14, v16, s2 :: v_dual_bitop2_b32 v15, s6, v15 bitop3:0x14
	s_delay_alu instid0(VALU_DEP_1) | instskip(NEXT) | instid1(VALU_DEP_1)
	v_xor_b32_e32 v4, v4, v15
	v_sub_nc_u32_e32 v16, v4, v15
	v_mov_b64_e32 v[14:15], v[12:13]
	s_delay_alu instid0(VALU_DEP_2) | instskip(NEXT) | instid1(VALU_DEP_1)
	v_ashrrev_i32_e32 v17, 31, v16
	v_cmp_eq_u64_e64 s2, v[8:9], v[16:17]
	v_cmp_ne_u64_e64 s3, v[8:9], v[16:17]
	s_wait_xcnt 0x0
	s_and_saveexec_b32 s16, s3
	s_delay_alu instid0(SALU_CYCLE_1)
	s_xor_b32 s3, exec_lo, s16
; %bb.11:                               ;   in Loop: Header=BB15_10 Depth=2
	v_min_i32_e32 v30, v16, v30
                                        ; implicit-def: $vgpr14_vgpr15
; %bb.12:                               ;   in Loop: Header=BB15_10 Depth=2
	s_or_saveexec_b32 s3, s3
	v_mov_b64_e32 v[12:13], v[6:7]
	s_xor_b32 exec_lo, exec_lo, s3
	s_cbranch_execz .LBB15_9
; %bb.13:                               ;   in Loop: Header=BB15_10 Depth=2
	v_mov_b64_e32 v[12:13], v[14:15]
	ds_store_b8 v20, v29 offset:32
	s_branch .LBB15_9
.LBB15_14:                              ;   in Loop: Header=BB15_7 Depth=1
	s_or_b32 exec_lo, exec_lo, s15
.LBB15_15:                              ;   in Loop: Header=BB15_7 Depth=1
	s_delay_alu instid0(SALU_CYCLE_1)
	s_or_b32 exec_lo, exec_lo, s14
	ds_bpermute_b32 v6, v22, v12
	ds_bpermute_b32 v7, v22, v13
	s_wait_dscnt 0x0
	ds_load_u8 v4, v20 offset:32
	v_min_i64 v[6:7], v[6:7], v[12:13]
	s_wait_dscnt 0x0
	v_and_b32_e32 v4, 1, v4
	s_delay_alu instid0(VALU_DEP_1)
	v_cmp_eq_u32_e64 s2, 1, v4
	s_and_b32 s3, vcc_lo, s2
	ds_bpermute_b32 v8, v23, v6
	ds_bpermute_b32 v9, v23, v7
	s_wait_dscnt 0x0
	v_min_i64 v[6:7], v[8:9], v[6:7]
	ds_bpermute_b32 v6, v24, v6
	ds_bpermute_b32 v7, v24, v7
	s_and_saveexec_b32 s2, s3
	s_cbranch_execz .LBB15_6
; %bb.16:                               ;   in Loop: Header=BB15_7 Depth=1
	ds_load_b32 v4, v19
	s_wait_dscnt 0x0
	v_add_nc_u32_e32 v4, 1, v4
	ds_store_b32 v19, v4
	s_branch .LBB15_6
.LBB15_17:
	s_or_b32 exec_lo, exec_lo, s13
.LBB15_18:
	s_delay_alu instid0(SALU_CYCLE_1)
	s_mov_b32 s2, exec_lo
	v_cmpx_eq_u32_e32 0, v21
	s_cbranch_execz .LBB15_21
; %bb.19:
	s_clause 0x1
	s_load_b32 s5, s[0:1], 0x28
	s_load_b64 s[2:3], s[0:1], 0x30
	v_cmp_gt_u32_e32 vcc_lo, s4, v18
	s_wait_kmcnt 0x0
	v_dual_mov_b32 v1, 0 :: v_dual_mov_b32 v0, s5
	global_store_b64 v1, v[0:1], s[2:3]
	s_wait_xcnt 0x0
	s_and_b32 exec_lo, exec_lo, vcc_lo
	s_cbranch_execz .LBB15_21
; %bb.20:
	ds_load_b32 v0, v19
	s_wait_dscnt 0x0
	v_ashrrev_i32_e32 v1, 31, v0
	global_store_b64 v18, v[0:1], s[2:3] offset:8 scale_offset
.LBB15_21:
	s_endpgm
	.section	.rodata,"a",@progbits
	.p2align	6, 0x0
	.amdhsa_kernel _ZN9rocsparseL46csr2bsr_nnz_wavefront_per_row_multipass_kernelILj256ELj32ELj8EliEEvT3_S1_S1_S1_S1_21rocsparse_index_base_PKT2_PKS1_S2_PS3_
		.amdhsa_group_segment_fixed_size 40
		.amdhsa_private_segment_fixed_size 0
		.amdhsa_kernarg_size 56
		.amdhsa_user_sgpr_count 2
		.amdhsa_user_sgpr_dispatch_ptr 0
		.amdhsa_user_sgpr_queue_ptr 0
		.amdhsa_user_sgpr_kernarg_segment_ptr 1
		.amdhsa_user_sgpr_dispatch_id 0
		.amdhsa_user_sgpr_kernarg_preload_length 0
		.amdhsa_user_sgpr_kernarg_preload_offset 0
		.amdhsa_user_sgpr_private_segment_size 0
		.amdhsa_wavefront_size32 1
		.amdhsa_uses_dynamic_stack 0
		.amdhsa_enable_private_segment 0
		.amdhsa_system_sgpr_workgroup_id_x 1
		.amdhsa_system_sgpr_workgroup_id_y 0
		.amdhsa_system_sgpr_workgroup_id_z 0
		.amdhsa_system_sgpr_workgroup_info 0
		.amdhsa_system_vgpr_workitem_id 0
		.amdhsa_next_free_vgpr 31
		.amdhsa_next_free_sgpr 17
		.amdhsa_named_barrier_count 0
		.amdhsa_reserve_vcc 1
		.amdhsa_float_round_mode_32 0
		.amdhsa_float_round_mode_16_64 0
		.amdhsa_float_denorm_mode_32 3
		.amdhsa_float_denorm_mode_16_64 3
		.amdhsa_fp16_overflow 0
		.amdhsa_memory_ordered 1
		.amdhsa_forward_progress 1
		.amdhsa_inst_pref_size 10
		.amdhsa_round_robin_scheduling 0
		.amdhsa_exception_fp_ieee_invalid_op 0
		.amdhsa_exception_fp_denorm_src 0
		.amdhsa_exception_fp_ieee_div_zero 0
		.amdhsa_exception_fp_ieee_overflow 0
		.amdhsa_exception_fp_ieee_underflow 0
		.amdhsa_exception_fp_ieee_inexact 0
		.amdhsa_exception_int_div_zero 0
	.end_amdhsa_kernel
	.section	.text._ZN9rocsparseL46csr2bsr_nnz_wavefront_per_row_multipass_kernelILj256ELj32ELj8EliEEvT3_S1_S1_S1_S1_21rocsparse_index_base_PKT2_PKS1_S2_PS3_,"axG",@progbits,_ZN9rocsparseL46csr2bsr_nnz_wavefront_per_row_multipass_kernelILj256ELj32ELj8EliEEvT3_S1_S1_S1_S1_21rocsparse_index_base_PKT2_PKS1_S2_PS3_,comdat
.Lfunc_end15:
	.size	_ZN9rocsparseL46csr2bsr_nnz_wavefront_per_row_multipass_kernelILj256ELj32ELj8EliEEvT3_S1_S1_S1_S1_21rocsparse_index_base_PKT2_PKS1_S2_PS3_, .Lfunc_end15-_ZN9rocsparseL46csr2bsr_nnz_wavefront_per_row_multipass_kernelILj256ELj32ELj8EliEEvT3_S1_S1_S1_S1_21rocsparse_index_base_PKT2_PKS1_S2_PS3_
                                        ; -- End function
	.set _ZN9rocsparseL46csr2bsr_nnz_wavefront_per_row_multipass_kernelILj256ELj32ELj8EliEEvT3_S1_S1_S1_S1_21rocsparse_index_base_PKT2_PKS1_S2_PS3_.num_vgpr, 31
	.set _ZN9rocsparseL46csr2bsr_nnz_wavefront_per_row_multipass_kernelILj256ELj32ELj8EliEEvT3_S1_S1_S1_S1_21rocsparse_index_base_PKT2_PKS1_S2_PS3_.num_agpr, 0
	.set _ZN9rocsparseL46csr2bsr_nnz_wavefront_per_row_multipass_kernelILj256ELj32ELj8EliEEvT3_S1_S1_S1_S1_21rocsparse_index_base_PKT2_PKS1_S2_PS3_.numbered_sgpr, 17
	.set _ZN9rocsparseL46csr2bsr_nnz_wavefront_per_row_multipass_kernelILj256ELj32ELj8EliEEvT3_S1_S1_S1_S1_21rocsparse_index_base_PKT2_PKS1_S2_PS3_.num_named_barrier, 0
	.set _ZN9rocsparseL46csr2bsr_nnz_wavefront_per_row_multipass_kernelILj256ELj32ELj8EliEEvT3_S1_S1_S1_S1_21rocsparse_index_base_PKT2_PKS1_S2_PS3_.private_seg_size, 0
	.set _ZN9rocsparseL46csr2bsr_nnz_wavefront_per_row_multipass_kernelILj256ELj32ELj8EliEEvT3_S1_S1_S1_S1_21rocsparse_index_base_PKT2_PKS1_S2_PS3_.uses_vcc, 1
	.set _ZN9rocsparseL46csr2bsr_nnz_wavefront_per_row_multipass_kernelILj256ELj32ELj8EliEEvT3_S1_S1_S1_S1_21rocsparse_index_base_PKT2_PKS1_S2_PS3_.uses_flat_scratch, 0
	.set _ZN9rocsparseL46csr2bsr_nnz_wavefront_per_row_multipass_kernelILj256ELj32ELj8EliEEvT3_S1_S1_S1_S1_21rocsparse_index_base_PKT2_PKS1_S2_PS3_.has_dyn_sized_stack, 0
	.set _ZN9rocsparseL46csr2bsr_nnz_wavefront_per_row_multipass_kernelILj256ELj32ELj8EliEEvT3_S1_S1_S1_S1_21rocsparse_index_base_PKT2_PKS1_S2_PS3_.has_recursion, 0
	.set _ZN9rocsparseL46csr2bsr_nnz_wavefront_per_row_multipass_kernelILj256ELj32ELj8EliEEvT3_S1_S1_S1_S1_21rocsparse_index_base_PKT2_PKS1_S2_PS3_.has_indirect_call, 0
	.section	.AMDGPU.csdata,"",@progbits
; Kernel info:
; codeLenInByte = 1276
; TotalNumSgprs: 19
; NumVgprs: 31
; ScratchSize: 0
; MemoryBound: 0
; FloatMode: 240
; IeeeMode: 1
; LDSByteSize: 40 bytes/workgroup (compile time only)
; SGPRBlocks: 0
; VGPRBlocks: 1
; NumSGPRsForWavesPerEU: 19
; NumVGPRsForWavesPerEU: 31
; NamedBarCnt: 0
; Occupancy: 16
; WaveLimiterHint : 0
; COMPUTE_PGM_RSRC2:SCRATCH_EN: 0
; COMPUTE_PGM_RSRC2:USER_SGPR: 2
; COMPUTE_PGM_RSRC2:TRAP_HANDLER: 0
; COMPUTE_PGM_RSRC2:TGID_X_EN: 1
; COMPUTE_PGM_RSRC2:TGID_Y_EN: 0
; COMPUTE_PGM_RSRC2:TGID_Z_EN: 0
; COMPUTE_PGM_RSRC2:TIDIG_COMP_CNT: 0
	.section	.text._ZN9rocsparseL46csr2bsr_nnz_wavefront_per_row_multipass_kernelILj256ELj64ELj16EliEEvT3_S1_S1_S1_S1_21rocsparse_index_base_PKT2_PKS1_S2_PS3_,"axG",@progbits,_ZN9rocsparseL46csr2bsr_nnz_wavefront_per_row_multipass_kernelILj256ELj64ELj16EliEEvT3_S1_S1_S1_S1_21rocsparse_index_base_PKT2_PKS1_S2_PS3_,comdat
	.globl	_ZN9rocsparseL46csr2bsr_nnz_wavefront_per_row_multipass_kernelILj256ELj64ELj16EliEEvT3_S1_S1_S1_S1_21rocsparse_index_base_PKT2_PKS1_S2_PS3_ ; -- Begin function _ZN9rocsparseL46csr2bsr_nnz_wavefront_per_row_multipass_kernelILj256ELj64ELj16EliEEvT3_S1_S1_S1_S1_21rocsparse_index_base_PKT2_PKS1_S2_PS3_
	.p2align	8
	.type	_ZN9rocsparseL46csr2bsr_nnz_wavefront_per_row_multipass_kernelILj256ELj64ELj16EliEEvT3_S1_S1_S1_S1_21rocsparse_index_base_PKT2_PKS1_S2_PS3_,@function
_ZN9rocsparseL46csr2bsr_nnz_wavefront_per_row_multipass_kernelILj256ELj64ELj16EliEEvT3_S1_S1_S1_S1_21rocsparse_index_base_PKT2_PKS1_S2_PS3_: ; @_ZN9rocsparseL46csr2bsr_nnz_wavefront_per_row_multipass_kernelILj256ELj64ELj16EliEEvT3_S1_S1_S1_S1_21rocsparse_index_base_PKT2_PKS1_S2_PS3_
; %bb.0:
	s_clause 0x1
	s_load_b128 s[4:7], s[0:1], 0x8
	s_load_b32 s2, s[0:1], 0x0
	s_bfe_u32 s3, ttmp6, 0x4000c
	s_and_b32 s8, ttmp6, 15
	s_add_co_i32 s3, s3, 1
	s_getreg_b32 s9, hwreg(HW_REG_IB_STS2, 6, 4)
	s_mul_i32 s3, ttmp9, s3
	v_dual_mov_b32 v5, 0 :: v_dual_lshrrev_b32 v20, 6, v0
	s_add_co_i32 s8, s8, s3
	s_cmp_eq_u32 s9, 0
	v_bfe_u32 v4, v0, 2, 4
	s_cselect_b32 s3, ttmp9, s8
	s_load_b64 s[8:9], s[0:1], 0x18
	v_lshl_or_b32 v18, s3, 2, v20
	v_mov_b64_e32 v[2:3], 0
	v_mov_b64_e32 v[6:7], 0
	v_lshlrev_b32_e32 v19, 2, v20
	s_mov_b32 s3, 0
	s_wait_kmcnt 0x0
	v_mad_u32 v1, v18, s6, v4
	v_cmp_gt_i32_e32 vcc_lo, s6, v4
	ds_store_b32 v19, v5
	s_wait_dscnt 0x0
	s_barrier_signal -1
	s_barrier_wait -1
	v_cmp_gt_i32_e64 s2, s2, v1
	s_and_b32 s10, vcc_lo, s2
	s_delay_alu instid0(SALU_CYCLE_1)
	s_and_saveexec_b32 s11, s10
	s_cbranch_execz .LBB16_2
; %bb.1:
	global_load_b64 v[4:5], v1, s[8:9] scale_offset
	s_mov_b32 s2, s7
	s_wait_loadcnt 0x0
	v_sub_nc_u64_e64 v[6:7], v[4:5], s[2:3]
.LBB16_2:
	s_or_b32 exec_lo, exec_lo, s11
	s_and_saveexec_b32 s2, s10
	s_cbranch_execz .LBB16_4
; %bb.3:
	global_load_b64 v[2:3], v1, s[8:9] offset:8 scale_offset
	s_wait_xcnt 0x0
	s_mov_b32 s9, 0
	s_mov_b32 s8, s7
	s_wait_loadcnt 0x0
	v_sub_nc_u64_e64 v[2:3], v[2:3], s[8:9]
.LBB16_4:
	s_or_b32 exec_lo, exec_lo, s2
	v_and_b32_e32 v21, 63, v0
	s_cmp_lt_i32 s5, 1
	s_delay_alu instid0(VALU_DEP_1)
	v_cmp_eq_u32_e32 vcc_lo, 0, v21
	s_cbranch_scc1 .LBB16_18
; %bb.5:
	v_mbcnt_lo_u32_b32 v4, -1, 0
	s_abs_i32 s12, s6
	v_dual_mov_b32 v5, 0 :: v_dual_bitop2_b32 v0, 3, v0 bitop3:0x40
	s_load_b64 s[8:9], s[0:1], 0x20
	s_delay_alu instid0(VALU_DEP_2)
	v_xor_b32_e32 v1, 2, v4
	v_xor_b32_e32 v11, 8, v4
	v_or_b32_e32 v10, 32, v4
	v_xor_b32_e32 v12, 4, v4
	v_lshl_or_b32 v24, v4, 2, 12
	v_cmp_gt_i32_e64 s2, 32, v1
	v_xor_b32_e32 v8, 1, v4
	v_bfrev_b32_e32 v29, 0.5
	s_mov_b32 s11, 0
	s_ashr_i32 s6, s6, 31
	v_cndmask_b32_e64 v9, v4, v1, s2
	v_cmp_gt_i32_e64 s2, 32, v8
	s_mov_b32 s13, s11
	v_dual_mov_b32 v1, v5 :: v_dual_mov_b32 v30, 1
	v_dual_lshlrev_b32 v22, 2, v9 :: v_dual_cndmask_b32 v8, v4, v8, s2
	s_cvt_f32_u32 s2, s12
	s_delay_alu instid0(SALU_CYCLE_3) | instskip(SKIP_1) | instid1(VALU_DEP_1)
	v_rcp_iflag_f32_e32 v9, s2
	v_cmp_gt_i32_e64 s2, 32, v10
	v_dual_lshlrev_b32 v23, 2, v8 :: v_dual_cndmask_b32 v10, v4, v10, s2
	v_xor_b32_e32 v8, 16, v4
	s_delay_alu instid0(TRANS32_DEP_1) | instskip(NEXT) | instid1(VALU_DEP_3)
	v_readfirstlane_b32 s3, v9
	v_lshlrev_b32_e32 v25, 2, v10
	s_delay_alu instid0(VALU_DEP_3) | instskip(NEXT) | instid1(VALU_DEP_1)
	v_cmp_gt_i32_e64 s2, 32, v8
	v_cndmask_b32_e64 v8, v4, v8, s2
	v_cmp_gt_i32_e64 s2, 32, v11
	s_delay_alu instid0(VALU_DEP_1) | instskip(SKIP_1) | instid1(VALU_DEP_1)
	v_dual_lshlrev_b32 v26, 2, v8 :: v_dual_cndmask_b32 v9, v4, v11, s2
	v_cmp_gt_i32_e64 s2, 32, v12
	v_dual_lshlrev_b32 v27, 2, v9 :: v_dual_cndmask_b32 v4, v4, v12, s2
	s_mul_f32 s2, s3, 0x4f7ffffe
	s_sub_co_i32 s3, 0, s12
	v_mov_b64_e32 v[8:9], 0
	s_delay_alu instid0(SALU_CYCLE_1) | instskip(SKIP_1) | instid1(SALU_CYCLE_2)
	s_cvt_u32_f32 s2, s2
	v_lshlrev_b32_e32 v28, 2, v4
	s_mul_i32 s3, s3, s2
	s_delay_alu instid0(SALU_CYCLE_1) | instskip(NEXT) | instid1(SALU_CYCLE_1)
	s_mul_hi_u32 s3, s2, s3
	s_add_co_i32 s10, s2, s3
	s_branch .LBB16_7
.LBB16_6:                               ;   in Loop: Header=BB16_7 Depth=1
	s_or_b32 exec_lo, exec_lo, s2
	ds_bpermute_b32 v4, v25, v31
	s_wait_dscnt 0x0
	v_min_i32_e32 v4, v4, v31
	ds_bpermute_b32 v8, v26, v4
	s_wait_dscnt 0x0
	v_min_i32_e32 v4, v8, v4
	;; [unrolled: 3-line block ×6, first 2 shown]
	ds_bpermute_b32 v8, v29, v4
	s_wait_dscnt 0x0
	v_cmp_le_i32_e64 s2, s5, v8
	v_ashrrev_i32_e32 v9, 31, v8
	s_or_b32 s13, s2, s13
	s_delay_alu instid0(SALU_CYCLE_1)
	s_and_not1_b32 exec_lo, exec_lo, s13
	s_cbranch_execz .LBB16_17
.LBB16_7:                               ; =>This Loop Header: Depth=1
                                        ;     Child Loop BB16_10 Depth 2
	v_add_nc_u64_e32 v[6:7], v[6:7], v[0:1]
	v_mov_b64_e32 v[12:13], v[2:3]
	v_mov_b32_e32 v31, s5
	s_mov_b32 s14, exec_lo
	ds_store_b8 v20, v5 offset:16
	s_wait_dscnt 0x0
	v_cmpx_lt_i64_e64 v[6:7], v[2:3]
	s_cbranch_execz .LBB16_15
; %bb.8:                                ;   in Loop: Header=BB16_7 Depth=1
	v_mov_b64_e32 v[12:13], v[2:3]
	s_wait_kmcnt 0x0
	v_lshl_add_u64 v[10:11], v[6:7], 2, s[8:9]
	v_mov_b32_e32 v31, s5
	s_mov_b32 s15, 0
	s_branch .LBB16_10
.LBB16_9:                               ;   in Loop: Header=BB16_10 Depth=2
	s_or_b32 exec_lo, exec_lo, s3
	v_add_nc_u64_e32 v[6:7], 4, v[6:7]
	s_xor_b32 s2, s2, -1
	v_add_nc_u64_e32 v[10:11], 16, v[10:11]
	s_delay_alu instid0(VALU_DEP_2) | instskip(SKIP_1) | instid1(SALU_CYCLE_1)
	v_cmp_ge_i64_e64 s3, v[6:7], v[2:3]
	s_or_b32 s2, s2, s3
	s_and_b32 s2, exec_lo, s2
	s_delay_alu instid0(SALU_CYCLE_1) | instskip(NEXT) | instid1(SALU_CYCLE_1)
	s_or_b32 s15, s2, s15
	s_and_not1_b32 exec_lo, exec_lo, s15
	s_cbranch_execz .LBB16_14
.LBB16_10:                              ;   Parent Loop BB16_7 Depth=1
                                        ; =>  This Inner Loop Header: Depth=2
	global_load_b32 v4, v[10:11], off
	s_wait_loadcnt 0x0
	v_subrev_nc_u32_e32 v16, s7, v4
	s_delay_alu instid0(VALU_DEP_1) | instskip(NEXT) | instid1(VALU_DEP_1)
	v_sub_nc_u32_e32 v4, 0, v16
	v_max_i32_e32 v4, v16, v4
	s_delay_alu instid0(VALU_DEP_1) | instskip(NEXT) | instid1(VALU_DEP_1)
	v_mul_u64_e32 v[14:15], s[10:11], v[4:5]
	v_mul_lo_u32 v14, v15, s12
	s_delay_alu instid0(VALU_DEP_1) | instskip(NEXT) | instid1(VALU_DEP_1)
	v_dual_sub_nc_u32 v4, v4, v14 :: v_dual_add_nc_u32 v14, 1, v15
	v_cmp_le_u32_e64 s2, s12, v4
	s_delay_alu instid0(VALU_DEP_1) | instskip(SKIP_1) | instid1(VALU_DEP_1)
	v_dual_cndmask_b32 v14, v15, v14, s2 :: v_dual_ashrrev_i32 v15, 31, v16
	v_subrev_nc_u32_e32 v17, s12, v4
	v_dual_add_nc_u32 v16, 1, v14 :: v_dual_cndmask_b32 v4, v4, v17, s2
	s_delay_alu instid0(VALU_DEP_1) | instskip(NEXT) | instid1(VALU_DEP_1)
	v_cmp_le_u32_e64 s2, s12, v4
	v_dual_cndmask_b32 v4, v14, v16, s2 :: v_dual_bitop2_b32 v15, s6, v15 bitop3:0x14
	s_delay_alu instid0(VALU_DEP_1) | instskip(NEXT) | instid1(VALU_DEP_1)
	v_xor_b32_e32 v4, v4, v15
	v_sub_nc_u32_e32 v16, v4, v15
	v_mov_b64_e32 v[14:15], v[12:13]
	s_delay_alu instid0(VALU_DEP_2) | instskip(NEXT) | instid1(VALU_DEP_1)
	v_ashrrev_i32_e32 v17, 31, v16
	v_cmp_eq_u64_e64 s2, v[8:9], v[16:17]
	v_cmp_ne_u64_e64 s3, v[8:9], v[16:17]
	s_wait_xcnt 0x0
	s_and_saveexec_b32 s16, s3
	s_delay_alu instid0(SALU_CYCLE_1)
	s_xor_b32 s3, exec_lo, s16
; %bb.11:                               ;   in Loop: Header=BB16_10 Depth=2
	v_min_i32_e32 v31, v16, v31
                                        ; implicit-def: $vgpr14_vgpr15
; %bb.12:                               ;   in Loop: Header=BB16_10 Depth=2
	s_or_saveexec_b32 s3, s3
	v_mov_b64_e32 v[12:13], v[6:7]
	s_xor_b32 exec_lo, exec_lo, s3
	s_cbranch_execz .LBB16_9
; %bb.13:                               ;   in Loop: Header=BB16_10 Depth=2
	v_mov_b64_e32 v[12:13], v[14:15]
	ds_store_b8 v20, v30 offset:16
	s_branch .LBB16_9
.LBB16_14:                              ;   in Loop: Header=BB16_7 Depth=1
	s_or_b32 exec_lo, exec_lo, s15
.LBB16_15:                              ;   in Loop: Header=BB16_7 Depth=1
	s_delay_alu instid0(SALU_CYCLE_1)
	s_or_b32 exec_lo, exec_lo, s14
	ds_bpermute_b32 v6, v22, v12
	ds_bpermute_b32 v7, v22, v13
	s_wait_dscnt 0x0
	ds_load_u8 v4, v20 offset:16
	v_min_i64 v[6:7], v[6:7], v[12:13]
	s_wait_dscnt 0x0
	v_and_b32_e32 v4, 1, v4
	s_delay_alu instid0(VALU_DEP_1)
	v_cmp_eq_u32_e64 s2, 1, v4
	s_and_b32 s3, vcc_lo, s2
	ds_bpermute_b32 v8, v23, v6
	ds_bpermute_b32 v9, v23, v7
	s_wait_dscnt 0x0
	v_min_i64 v[6:7], v[8:9], v[6:7]
	ds_bpermute_b32 v6, v24, v6
	ds_bpermute_b32 v7, v24, v7
	s_and_saveexec_b32 s2, s3
	s_cbranch_execz .LBB16_6
; %bb.16:                               ;   in Loop: Header=BB16_7 Depth=1
	ds_load_b32 v4, v19
	s_wait_dscnt 0x0
	v_add_nc_u32_e32 v4, 1, v4
	ds_store_b32 v19, v4
	s_branch .LBB16_6
.LBB16_17:
	s_or_b32 exec_lo, exec_lo, s13
.LBB16_18:
	s_delay_alu instid0(SALU_CYCLE_1)
	s_mov_b32 s2, exec_lo
	v_cmpx_eq_u32_e32 0, v21
	s_cbranch_execz .LBB16_21
; %bb.19:
	s_clause 0x1
	s_load_b32 s5, s[0:1], 0x28
	s_load_b64 s[2:3], s[0:1], 0x30
	v_cmp_gt_u32_e32 vcc_lo, s4, v18
	s_wait_kmcnt 0x0
	v_dual_mov_b32 v1, 0 :: v_dual_mov_b32 v0, s5
	global_store_b64 v1, v[0:1], s[2:3]
	s_wait_xcnt 0x0
	s_and_b32 exec_lo, exec_lo, vcc_lo
	s_cbranch_execz .LBB16_21
; %bb.20:
	ds_load_b32 v0, v19
	s_wait_dscnt 0x0
	v_ashrrev_i32_e32 v1, 31, v0
	global_store_b64 v18, v[0:1], s[2:3] offset:8 scale_offset
.LBB16_21:
	s_endpgm
	.section	.rodata,"a",@progbits
	.p2align	6, 0x0
	.amdhsa_kernel _ZN9rocsparseL46csr2bsr_nnz_wavefront_per_row_multipass_kernelILj256ELj64ELj16EliEEvT3_S1_S1_S1_S1_21rocsparse_index_base_PKT2_PKS1_S2_PS3_
		.amdhsa_group_segment_fixed_size 20
		.amdhsa_private_segment_fixed_size 0
		.amdhsa_kernarg_size 56
		.amdhsa_user_sgpr_count 2
		.amdhsa_user_sgpr_dispatch_ptr 0
		.amdhsa_user_sgpr_queue_ptr 0
		.amdhsa_user_sgpr_kernarg_segment_ptr 1
		.amdhsa_user_sgpr_dispatch_id 0
		.amdhsa_user_sgpr_kernarg_preload_length 0
		.amdhsa_user_sgpr_kernarg_preload_offset 0
		.amdhsa_user_sgpr_private_segment_size 0
		.amdhsa_wavefront_size32 1
		.amdhsa_uses_dynamic_stack 0
		.amdhsa_enable_private_segment 0
		.amdhsa_system_sgpr_workgroup_id_x 1
		.amdhsa_system_sgpr_workgroup_id_y 0
		.amdhsa_system_sgpr_workgroup_id_z 0
		.amdhsa_system_sgpr_workgroup_info 0
		.amdhsa_system_vgpr_workitem_id 0
		.amdhsa_next_free_vgpr 32
		.amdhsa_next_free_sgpr 17
		.amdhsa_named_barrier_count 0
		.amdhsa_reserve_vcc 1
		.amdhsa_float_round_mode_32 0
		.amdhsa_float_round_mode_16_64 0
		.amdhsa_float_denorm_mode_32 3
		.amdhsa_float_denorm_mode_16_64 3
		.amdhsa_fp16_overflow 0
		.amdhsa_memory_ordered 1
		.amdhsa_forward_progress 1
		.amdhsa_inst_pref_size 11
		.amdhsa_round_robin_scheduling 0
		.amdhsa_exception_fp_ieee_invalid_op 0
		.amdhsa_exception_fp_denorm_src 0
		.amdhsa_exception_fp_ieee_div_zero 0
		.amdhsa_exception_fp_ieee_overflow 0
		.amdhsa_exception_fp_ieee_underflow 0
		.amdhsa_exception_fp_ieee_inexact 0
		.amdhsa_exception_int_div_zero 0
	.end_amdhsa_kernel
	.section	.text._ZN9rocsparseL46csr2bsr_nnz_wavefront_per_row_multipass_kernelILj256ELj64ELj16EliEEvT3_S1_S1_S1_S1_21rocsparse_index_base_PKT2_PKS1_S2_PS3_,"axG",@progbits,_ZN9rocsparseL46csr2bsr_nnz_wavefront_per_row_multipass_kernelILj256ELj64ELj16EliEEvT3_S1_S1_S1_S1_21rocsparse_index_base_PKT2_PKS1_S2_PS3_,comdat
.Lfunc_end16:
	.size	_ZN9rocsparseL46csr2bsr_nnz_wavefront_per_row_multipass_kernelILj256ELj64ELj16EliEEvT3_S1_S1_S1_S1_21rocsparse_index_base_PKT2_PKS1_S2_PS3_, .Lfunc_end16-_ZN9rocsparseL46csr2bsr_nnz_wavefront_per_row_multipass_kernelILj256ELj64ELj16EliEEvT3_S1_S1_S1_S1_21rocsparse_index_base_PKT2_PKS1_S2_PS3_
                                        ; -- End function
	.set _ZN9rocsparseL46csr2bsr_nnz_wavefront_per_row_multipass_kernelILj256ELj64ELj16EliEEvT3_S1_S1_S1_S1_21rocsparse_index_base_PKT2_PKS1_S2_PS3_.num_vgpr, 32
	.set _ZN9rocsparseL46csr2bsr_nnz_wavefront_per_row_multipass_kernelILj256ELj64ELj16EliEEvT3_S1_S1_S1_S1_21rocsparse_index_base_PKT2_PKS1_S2_PS3_.num_agpr, 0
	.set _ZN9rocsparseL46csr2bsr_nnz_wavefront_per_row_multipass_kernelILj256ELj64ELj16EliEEvT3_S1_S1_S1_S1_21rocsparse_index_base_PKT2_PKS1_S2_PS3_.numbered_sgpr, 17
	.set _ZN9rocsparseL46csr2bsr_nnz_wavefront_per_row_multipass_kernelILj256ELj64ELj16EliEEvT3_S1_S1_S1_S1_21rocsparse_index_base_PKT2_PKS1_S2_PS3_.num_named_barrier, 0
	.set _ZN9rocsparseL46csr2bsr_nnz_wavefront_per_row_multipass_kernelILj256ELj64ELj16EliEEvT3_S1_S1_S1_S1_21rocsparse_index_base_PKT2_PKS1_S2_PS3_.private_seg_size, 0
	.set _ZN9rocsparseL46csr2bsr_nnz_wavefront_per_row_multipass_kernelILj256ELj64ELj16EliEEvT3_S1_S1_S1_S1_21rocsparse_index_base_PKT2_PKS1_S2_PS3_.uses_vcc, 1
	.set _ZN9rocsparseL46csr2bsr_nnz_wavefront_per_row_multipass_kernelILj256ELj64ELj16EliEEvT3_S1_S1_S1_S1_21rocsparse_index_base_PKT2_PKS1_S2_PS3_.uses_flat_scratch, 0
	.set _ZN9rocsparseL46csr2bsr_nnz_wavefront_per_row_multipass_kernelILj256ELj64ELj16EliEEvT3_S1_S1_S1_S1_21rocsparse_index_base_PKT2_PKS1_S2_PS3_.has_dyn_sized_stack, 0
	.set _ZN9rocsparseL46csr2bsr_nnz_wavefront_per_row_multipass_kernelILj256ELj64ELj16EliEEvT3_S1_S1_S1_S1_21rocsparse_index_base_PKT2_PKS1_S2_PS3_.has_recursion, 0
	.set _ZN9rocsparseL46csr2bsr_nnz_wavefront_per_row_multipass_kernelILj256ELj64ELj16EliEEvT3_S1_S1_S1_S1_21rocsparse_index_base_PKT2_PKS1_S2_PS3_.has_indirect_call, 0
	.section	.AMDGPU.csdata,"",@progbits
; Kernel info:
; codeLenInByte = 1292
; TotalNumSgprs: 19
; NumVgprs: 32
; ScratchSize: 0
; MemoryBound: 0
; FloatMode: 240
; IeeeMode: 1
; LDSByteSize: 20 bytes/workgroup (compile time only)
; SGPRBlocks: 0
; VGPRBlocks: 1
; NumSGPRsForWavesPerEU: 19
; NumVGPRsForWavesPerEU: 32
; NamedBarCnt: 0
; Occupancy: 16
; WaveLimiterHint : 0
; COMPUTE_PGM_RSRC2:SCRATCH_EN: 0
; COMPUTE_PGM_RSRC2:USER_SGPR: 2
; COMPUTE_PGM_RSRC2:TRAP_HANDLER: 0
; COMPUTE_PGM_RSRC2:TGID_X_EN: 1
; COMPUTE_PGM_RSRC2:TGID_Y_EN: 0
; COMPUTE_PGM_RSRC2:TGID_Z_EN: 0
; COMPUTE_PGM_RSRC2:TIDIG_COMP_CNT: 0
	.section	.text._ZN9rocsparseL46csr2bsr_nnz_wavefront_per_row_multipass_kernelILj256ELj32ELj16EliEEvT3_S1_S1_S1_S1_21rocsparse_index_base_PKT2_PKS1_S2_PS3_,"axG",@progbits,_ZN9rocsparseL46csr2bsr_nnz_wavefront_per_row_multipass_kernelILj256ELj32ELj16EliEEvT3_S1_S1_S1_S1_21rocsparse_index_base_PKT2_PKS1_S2_PS3_,comdat
	.globl	_ZN9rocsparseL46csr2bsr_nnz_wavefront_per_row_multipass_kernelILj256ELj32ELj16EliEEvT3_S1_S1_S1_S1_21rocsparse_index_base_PKT2_PKS1_S2_PS3_ ; -- Begin function _ZN9rocsparseL46csr2bsr_nnz_wavefront_per_row_multipass_kernelILj256ELj32ELj16EliEEvT3_S1_S1_S1_S1_21rocsparse_index_base_PKT2_PKS1_S2_PS3_
	.p2align	8
	.type	_ZN9rocsparseL46csr2bsr_nnz_wavefront_per_row_multipass_kernelILj256ELj32ELj16EliEEvT3_S1_S1_S1_S1_21rocsparse_index_base_PKT2_PKS1_S2_PS3_,@function
_ZN9rocsparseL46csr2bsr_nnz_wavefront_per_row_multipass_kernelILj256ELj32ELj16EliEEvT3_S1_S1_S1_S1_21rocsparse_index_base_PKT2_PKS1_S2_PS3_: ; @_ZN9rocsparseL46csr2bsr_nnz_wavefront_per_row_multipass_kernelILj256ELj32ELj16EliEEvT3_S1_S1_S1_S1_21rocsparse_index_base_PKT2_PKS1_S2_PS3_
; %bb.0:
	s_clause 0x1
	s_load_b128 s[4:7], s[0:1], 0x8
	s_load_b32 s2, s[0:1], 0x0
	s_bfe_u32 s3, ttmp6, 0x4000c
	s_and_b32 s8, ttmp6, 15
	s_add_co_i32 s3, s3, 1
	s_getreg_b32 s9, hwreg(HW_REG_IB_STS2, 6, 4)
	s_mul_i32 s3, ttmp9, s3
	v_dual_mov_b32 v5, 0 :: v_dual_lshrrev_b32 v20, 5, v0
	s_add_co_i32 s8, s8, s3
	s_cmp_eq_u32 s9, 0
	v_bfe_u32 v4, v0, 1, 4
	s_cselect_b32 s3, ttmp9, s8
	s_load_b64 s[8:9], s[0:1], 0x18
	v_lshl_or_b32 v18, s3, 3, v20
	v_mov_b64_e32 v[2:3], 0
	v_mov_b64_e32 v[6:7], 0
	v_lshlrev_b32_e32 v19, 2, v20
	s_mov_b32 s3, 0
	s_wait_kmcnt 0x0
	v_mad_u32 v1, v18, s6, v4
	v_cmp_gt_i32_e32 vcc_lo, s6, v4
	ds_store_b32 v19, v5
	s_wait_dscnt 0x0
	s_barrier_signal -1
	s_barrier_wait -1
	v_cmp_gt_i32_e64 s2, s2, v1
	s_and_b32 s10, vcc_lo, s2
	s_delay_alu instid0(SALU_CYCLE_1)
	s_and_saveexec_b32 s11, s10
	s_cbranch_execz .LBB17_2
; %bb.1:
	global_load_b64 v[4:5], v1, s[8:9] scale_offset
	s_mov_b32 s2, s7
	s_wait_loadcnt 0x0
	v_sub_nc_u64_e64 v[6:7], v[4:5], s[2:3]
.LBB17_2:
	s_or_b32 exec_lo, exec_lo, s11
	s_and_saveexec_b32 s2, s10
	s_cbranch_execz .LBB17_4
; %bb.3:
	global_load_b64 v[2:3], v1, s[8:9] offset:8 scale_offset
	s_wait_xcnt 0x0
	s_mov_b32 s9, 0
	s_mov_b32 s8, s7
	s_wait_loadcnt 0x0
	v_sub_nc_u64_e64 v[2:3], v[2:3], s[8:9]
.LBB17_4:
	s_or_b32 exec_lo, exec_lo, s2
	v_and_b32_e32 v21, 31, v0
	s_cmp_lt_i32 s5, 1
	s_delay_alu instid0(VALU_DEP_1)
	v_cmp_eq_u32_e32 vcc_lo, 0, v21
	s_cbranch_scc1 .LBB17_18
; %bb.5:
	v_mbcnt_lo_u32_b32 v4, -1, 0
	v_dual_mov_b32 v5, 0 :: v_dual_bitop2_b32 v0, 1, v0 bitop3:0x40
	s_abs_i32 s12, s6
	s_load_b64 s[8:9], s[0:1], 0x20
	s_delay_alu instid0(VALU_DEP_2) | instskip(NEXT) | instid1(VALU_DEP_2)
	v_xor_b32_e32 v8, 1, v4
	v_dual_mov_b32 v1, v5 :: v_dual_bitop2_b32 v9, 16, v4 bitop3:0x14
	v_xor_b32_e32 v10, 8, v4
	s_cvt_f32_u32 s3, s12
	s_delay_alu instid0(VALU_DEP_3)
	v_cmp_gt_i32_e64 s2, 32, v8
	v_lshl_or_b32 v22, v4, 2, 4
	v_mov_b32_e32 v28, 0x7c
	v_rcp_iflag_f32_e32 v11, s3
	s_mov_b32 s11, 0
	v_cndmask_b32_e64 v8, v4, v8, s2
	v_cmp_gt_i32_e64 s2, 32, v9
	s_ashr_i32 s6, s6, 31
	s_mov_b32 s13, s11
	v_dual_mov_b32 v29, 1 :: v_dual_lshlrev_b32 v23, 2, v8
	v_dual_cndmask_b32 v8, v4, v9, s2 :: v_dual_bitop2_b32 v9, 4, v4 bitop3:0x14
	v_cmp_gt_i32_e64 s2, 32, v10
	v_readfirstlane_b32 s3, v11
	s_delay_alu instid0(VALU_DEP_2) | instskip(NEXT) | instid1(VALU_DEP_4)
	v_dual_lshlrev_b32 v24, 2, v8 :: v_dual_cndmask_b32 v10, v4, v10, s2
	v_cmp_gt_i32_e64 s2, 32, v9
	s_delay_alu instid0(VALU_DEP_1) | instskip(NEXT) | instid1(VALU_DEP_1)
	v_dual_lshlrev_b32 v25, 2, v10 :: v_dual_cndmask_b32 v9, v4, v9, s2
	v_dual_lshlrev_b32 v26, 2, v9 :: v_dual_bitop2_b32 v12, 2, v4 bitop3:0x14
	s_delay_alu instid0(VALU_DEP_1) | instskip(SKIP_1) | instid1(VALU_DEP_2)
	v_cmp_gt_i32_e64 s2, 32, v12
	v_mov_b64_e32 v[8:9], 0
	v_cndmask_b32_e64 v4, v4, v12, s2
	s_mul_f32 s2, s3, 0x4f7ffffe
	s_sub_co_i32 s3, 0, s12
	s_delay_alu instid0(SALU_CYCLE_2) | instskip(NEXT) | instid1(VALU_DEP_1)
	s_cvt_u32_f32 s2, s2
	v_lshlrev_b32_e32 v27, 2, v4
	s_delay_alu instid0(SALU_CYCLE_2) | instskip(NEXT) | instid1(SALU_CYCLE_1)
	s_mul_i32 s3, s3, s2
	s_mul_hi_u32 s3, s2, s3
	s_delay_alu instid0(SALU_CYCLE_1)
	s_add_co_i32 s10, s2, s3
	s_branch .LBB17_7
.LBB17_6:                               ;   in Loop: Header=BB17_7 Depth=1
	s_or_b32 exec_lo, exec_lo, s2
	ds_bpermute_b32 v4, v24, v30
	s_wait_dscnt 0x0
	v_min_i32_e32 v4, v4, v30
	ds_bpermute_b32 v8, v25, v4
	s_wait_dscnt 0x0
	v_min_i32_e32 v4, v8, v4
	;; [unrolled: 3-line block ×5, first 2 shown]
	ds_bpermute_b32 v8, v28, v4
	s_wait_dscnt 0x0
	v_cmp_le_i32_e64 s2, s5, v8
	v_ashrrev_i32_e32 v9, 31, v8
	s_or_b32 s13, s2, s13
	s_delay_alu instid0(SALU_CYCLE_1)
	s_and_not1_b32 exec_lo, exec_lo, s13
	s_cbranch_execz .LBB17_17
.LBB17_7:                               ; =>This Loop Header: Depth=1
                                        ;     Child Loop BB17_10 Depth 2
	v_add_nc_u64_e32 v[6:7], v[6:7], v[0:1]
	v_mov_b64_e32 v[12:13], v[2:3]
	v_mov_b32_e32 v30, s5
	s_mov_b32 s14, exec_lo
	ds_store_b8 v20, v5 offset:32
	s_wait_dscnt 0x0
	v_cmpx_lt_i64_e64 v[6:7], v[2:3]
	s_cbranch_execz .LBB17_15
; %bb.8:                                ;   in Loop: Header=BB17_7 Depth=1
	v_mov_b64_e32 v[12:13], v[2:3]
	s_wait_kmcnt 0x0
	v_lshl_add_u64 v[10:11], v[6:7], 2, s[8:9]
	v_mov_b32_e32 v30, s5
	s_mov_b32 s15, 0
	s_branch .LBB17_10
.LBB17_9:                               ;   in Loop: Header=BB17_10 Depth=2
	s_or_b32 exec_lo, exec_lo, s3
	v_add_nc_u64_e32 v[6:7], 2, v[6:7]
	s_xor_b32 s2, s2, -1
	v_add_nc_u64_e32 v[10:11], 8, v[10:11]
	s_delay_alu instid0(VALU_DEP_2) | instskip(SKIP_1) | instid1(SALU_CYCLE_1)
	v_cmp_ge_i64_e64 s3, v[6:7], v[2:3]
	s_or_b32 s2, s2, s3
	s_and_b32 s2, exec_lo, s2
	s_delay_alu instid0(SALU_CYCLE_1) | instskip(NEXT) | instid1(SALU_CYCLE_1)
	s_or_b32 s15, s2, s15
	s_and_not1_b32 exec_lo, exec_lo, s15
	s_cbranch_execz .LBB17_14
.LBB17_10:                              ;   Parent Loop BB17_7 Depth=1
                                        ; =>  This Inner Loop Header: Depth=2
	global_load_b32 v4, v[10:11], off
	s_wait_loadcnt 0x0
	v_subrev_nc_u32_e32 v16, s7, v4
	s_delay_alu instid0(VALU_DEP_1) | instskip(NEXT) | instid1(VALU_DEP_1)
	v_sub_nc_u32_e32 v4, 0, v16
	v_max_i32_e32 v4, v16, v4
	s_delay_alu instid0(VALU_DEP_1) | instskip(NEXT) | instid1(VALU_DEP_1)
	v_mul_u64_e32 v[14:15], s[10:11], v[4:5]
	v_mul_lo_u32 v14, v15, s12
	s_delay_alu instid0(VALU_DEP_1) | instskip(NEXT) | instid1(VALU_DEP_1)
	v_dual_sub_nc_u32 v4, v4, v14 :: v_dual_add_nc_u32 v14, 1, v15
	v_cmp_le_u32_e64 s2, s12, v4
	s_delay_alu instid0(VALU_DEP_1) | instskip(SKIP_1) | instid1(VALU_DEP_1)
	v_dual_cndmask_b32 v14, v15, v14, s2 :: v_dual_ashrrev_i32 v15, 31, v16
	v_subrev_nc_u32_e32 v17, s12, v4
	v_dual_add_nc_u32 v16, 1, v14 :: v_dual_cndmask_b32 v4, v4, v17, s2
	s_delay_alu instid0(VALU_DEP_1) | instskip(NEXT) | instid1(VALU_DEP_1)
	v_cmp_le_u32_e64 s2, s12, v4
	v_dual_cndmask_b32 v4, v14, v16, s2 :: v_dual_bitop2_b32 v15, s6, v15 bitop3:0x14
	s_delay_alu instid0(VALU_DEP_1) | instskip(NEXT) | instid1(VALU_DEP_1)
	v_xor_b32_e32 v4, v4, v15
	v_sub_nc_u32_e32 v16, v4, v15
	v_mov_b64_e32 v[14:15], v[12:13]
	s_delay_alu instid0(VALU_DEP_2) | instskip(NEXT) | instid1(VALU_DEP_1)
	v_ashrrev_i32_e32 v17, 31, v16
	v_cmp_eq_u64_e64 s2, v[8:9], v[16:17]
	v_cmp_ne_u64_e64 s3, v[8:9], v[16:17]
	s_wait_xcnt 0x0
	s_and_saveexec_b32 s16, s3
	s_delay_alu instid0(SALU_CYCLE_1)
	s_xor_b32 s3, exec_lo, s16
; %bb.11:                               ;   in Loop: Header=BB17_10 Depth=2
	v_min_i32_e32 v30, v16, v30
                                        ; implicit-def: $vgpr14_vgpr15
; %bb.12:                               ;   in Loop: Header=BB17_10 Depth=2
	s_or_saveexec_b32 s3, s3
	v_mov_b64_e32 v[12:13], v[6:7]
	s_xor_b32 exec_lo, exec_lo, s3
	s_cbranch_execz .LBB17_9
; %bb.13:                               ;   in Loop: Header=BB17_10 Depth=2
	v_mov_b64_e32 v[12:13], v[14:15]
	ds_store_b8 v20, v29 offset:32
	s_branch .LBB17_9
.LBB17_14:                              ;   in Loop: Header=BB17_7 Depth=1
	s_or_b32 exec_lo, exec_lo, s15
.LBB17_15:                              ;   in Loop: Header=BB17_7 Depth=1
	s_delay_alu instid0(SALU_CYCLE_1)
	s_or_b32 exec_lo, exec_lo, s14
	ds_bpermute_b32 v6, v23, v12
	ds_bpermute_b32 v7, v23, v13
	s_wait_dscnt 0x0
	ds_load_u8 v4, v20 offset:32
	v_min_i64 v[6:7], v[6:7], v[12:13]
	s_wait_dscnt 0x0
	v_and_b32_e32 v4, 1, v4
	s_delay_alu instid0(VALU_DEP_1)
	v_cmp_eq_u32_e64 s2, 1, v4
	s_and_b32 s3, vcc_lo, s2
	ds_bpermute_b32 v6, v22, v6
	ds_bpermute_b32 v7, v22, v7
	s_and_saveexec_b32 s2, s3
	s_cbranch_execz .LBB17_6
; %bb.16:                               ;   in Loop: Header=BB17_7 Depth=1
	ds_load_b32 v4, v19
	s_wait_dscnt 0x0
	v_add_nc_u32_e32 v4, 1, v4
	ds_store_b32 v19, v4
	s_branch .LBB17_6
.LBB17_17:
	s_or_b32 exec_lo, exec_lo, s13
.LBB17_18:
	s_delay_alu instid0(SALU_CYCLE_1)
	s_mov_b32 s2, exec_lo
	v_cmpx_eq_u32_e32 0, v21
	s_cbranch_execz .LBB17_21
; %bb.19:
	s_clause 0x1
	s_load_b32 s5, s[0:1], 0x28
	s_load_b64 s[2:3], s[0:1], 0x30
	v_cmp_gt_u32_e32 vcc_lo, s4, v18
	s_wait_kmcnt 0x0
	v_dual_mov_b32 v1, 0 :: v_dual_mov_b32 v0, s5
	global_store_b64 v1, v[0:1], s[2:3]
	s_wait_xcnt 0x0
	s_and_b32 exec_lo, exec_lo, vcc_lo
	s_cbranch_execz .LBB17_21
; %bb.20:
	ds_load_b32 v0, v19
	s_wait_dscnt 0x0
	v_ashrrev_i32_e32 v1, 31, v0
	global_store_b64 v18, v[0:1], s[2:3] offset:8 scale_offset
.LBB17_21:
	s_endpgm
	.section	.rodata,"a",@progbits
	.p2align	6, 0x0
	.amdhsa_kernel _ZN9rocsparseL46csr2bsr_nnz_wavefront_per_row_multipass_kernelILj256ELj32ELj16EliEEvT3_S1_S1_S1_S1_21rocsparse_index_base_PKT2_PKS1_S2_PS3_
		.amdhsa_group_segment_fixed_size 40
		.amdhsa_private_segment_fixed_size 0
		.amdhsa_kernarg_size 56
		.amdhsa_user_sgpr_count 2
		.amdhsa_user_sgpr_dispatch_ptr 0
		.amdhsa_user_sgpr_queue_ptr 0
		.amdhsa_user_sgpr_kernarg_segment_ptr 1
		.amdhsa_user_sgpr_dispatch_id 0
		.amdhsa_user_sgpr_kernarg_preload_length 0
		.amdhsa_user_sgpr_kernarg_preload_offset 0
		.amdhsa_user_sgpr_private_segment_size 0
		.amdhsa_wavefront_size32 1
		.amdhsa_uses_dynamic_stack 0
		.amdhsa_enable_private_segment 0
		.amdhsa_system_sgpr_workgroup_id_x 1
		.amdhsa_system_sgpr_workgroup_id_y 0
		.amdhsa_system_sgpr_workgroup_id_z 0
		.amdhsa_system_sgpr_workgroup_info 0
		.amdhsa_system_vgpr_workitem_id 0
		.amdhsa_next_free_vgpr 31
		.amdhsa_next_free_sgpr 17
		.amdhsa_named_barrier_count 0
		.amdhsa_reserve_vcc 1
		.amdhsa_float_round_mode_32 0
		.amdhsa_float_round_mode_16_64 0
		.amdhsa_float_denorm_mode_32 3
		.amdhsa_float_denorm_mode_16_64 3
		.amdhsa_fp16_overflow 0
		.amdhsa_memory_ordered 1
		.amdhsa_forward_progress 1
		.amdhsa_inst_pref_size 10
		.amdhsa_round_robin_scheduling 0
		.amdhsa_exception_fp_ieee_invalid_op 0
		.amdhsa_exception_fp_denorm_src 0
		.amdhsa_exception_fp_ieee_div_zero 0
		.amdhsa_exception_fp_ieee_overflow 0
		.amdhsa_exception_fp_ieee_underflow 0
		.amdhsa_exception_fp_ieee_inexact 0
		.amdhsa_exception_int_div_zero 0
	.end_amdhsa_kernel
	.section	.text._ZN9rocsparseL46csr2bsr_nnz_wavefront_per_row_multipass_kernelILj256ELj32ELj16EliEEvT3_S1_S1_S1_S1_21rocsparse_index_base_PKT2_PKS1_S2_PS3_,"axG",@progbits,_ZN9rocsparseL46csr2bsr_nnz_wavefront_per_row_multipass_kernelILj256ELj32ELj16EliEEvT3_S1_S1_S1_S1_21rocsparse_index_base_PKT2_PKS1_S2_PS3_,comdat
.Lfunc_end17:
	.size	_ZN9rocsparseL46csr2bsr_nnz_wavefront_per_row_multipass_kernelILj256ELj32ELj16EliEEvT3_S1_S1_S1_S1_21rocsparse_index_base_PKT2_PKS1_S2_PS3_, .Lfunc_end17-_ZN9rocsparseL46csr2bsr_nnz_wavefront_per_row_multipass_kernelILj256ELj32ELj16EliEEvT3_S1_S1_S1_S1_21rocsparse_index_base_PKT2_PKS1_S2_PS3_
                                        ; -- End function
	.set _ZN9rocsparseL46csr2bsr_nnz_wavefront_per_row_multipass_kernelILj256ELj32ELj16EliEEvT3_S1_S1_S1_S1_21rocsparse_index_base_PKT2_PKS1_S2_PS3_.num_vgpr, 31
	.set _ZN9rocsparseL46csr2bsr_nnz_wavefront_per_row_multipass_kernelILj256ELj32ELj16EliEEvT3_S1_S1_S1_S1_21rocsparse_index_base_PKT2_PKS1_S2_PS3_.num_agpr, 0
	.set _ZN9rocsparseL46csr2bsr_nnz_wavefront_per_row_multipass_kernelILj256ELj32ELj16EliEEvT3_S1_S1_S1_S1_21rocsparse_index_base_PKT2_PKS1_S2_PS3_.numbered_sgpr, 17
	.set _ZN9rocsparseL46csr2bsr_nnz_wavefront_per_row_multipass_kernelILj256ELj32ELj16EliEEvT3_S1_S1_S1_S1_21rocsparse_index_base_PKT2_PKS1_S2_PS3_.num_named_barrier, 0
	.set _ZN9rocsparseL46csr2bsr_nnz_wavefront_per_row_multipass_kernelILj256ELj32ELj16EliEEvT3_S1_S1_S1_S1_21rocsparse_index_base_PKT2_PKS1_S2_PS3_.private_seg_size, 0
	.set _ZN9rocsparseL46csr2bsr_nnz_wavefront_per_row_multipass_kernelILj256ELj32ELj16EliEEvT3_S1_S1_S1_S1_21rocsparse_index_base_PKT2_PKS1_S2_PS3_.uses_vcc, 1
	.set _ZN9rocsparseL46csr2bsr_nnz_wavefront_per_row_multipass_kernelILj256ELj32ELj16EliEEvT3_S1_S1_S1_S1_21rocsparse_index_base_PKT2_PKS1_S2_PS3_.uses_flat_scratch, 0
	.set _ZN9rocsparseL46csr2bsr_nnz_wavefront_per_row_multipass_kernelILj256ELj32ELj16EliEEvT3_S1_S1_S1_S1_21rocsparse_index_base_PKT2_PKS1_S2_PS3_.has_dyn_sized_stack, 0
	.set _ZN9rocsparseL46csr2bsr_nnz_wavefront_per_row_multipass_kernelILj256ELj32ELj16EliEEvT3_S1_S1_S1_S1_21rocsparse_index_base_PKT2_PKS1_S2_PS3_.has_recursion, 0
	.set _ZN9rocsparseL46csr2bsr_nnz_wavefront_per_row_multipass_kernelILj256ELj32ELj16EliEEvT3_S1_S1_S1_S1_21rocsparse_index_base_PKT2_PKS1_S2_PS3_.has_indirect_call, 0
	.section	.AMDGPU.csdata,"",@progbits
; Kernel info:
; codeLenInByte = 1244
; TotalNumSgprs: 19
; NumVgprs: 31
; ScratchSize: 0
; MemoryBound: 0
; FloatMode: 240
; IeeeMode: 1
; LDSByteSize: 40 bytes/workgroup (compile time only)
; SGPRBlocks: 0
; VGPRBlocks: 1
; NumSGPRsForWavesPerEU: 19
; NumVGPRsForWavesPerEU: 31
; NamedBarCnt: 0
; Occupancy: 16
; WaveLimiterHint : 0
; COMPUTE_PGM_RSRC2:SCRATCH_EN: 0
; COMPUTE_PGM_RSRC2:USER_SGPR: 2
; COMPUTE_PGM_RSRC2:TRAP_HANDLER: 0
; COMPUTE_PGM_RSRC2:TGID_X_EN: 1
; COMPUTE_PGM_RSRC2:TGID_Y_EN: 0
; COMPUTE_PGM_RSRC2:TGID_Z_EN: 0
; COMPUTE_PGM_RSRC2:TIDIG_COMP_CNT: 0
	.section	.text._ZN9rocsparseL42csr2bsr_nnz_block_per_row_multipass_kernelILj256ELj32EliEEvT2_S1_S1_S1_S1_21rocsparse_index_base_PKT1_PKS1_S2_PS3_,"axG",@progbits,_ZN9rocsparseL42csr2bsr_nnz_block_per_row_multipass_kernelILj256ELj32EliEEvT2_S1_S1_S1_S1_21rocsparse_index_base_PKT1_PKS1_S2_PS3_,comdat
	.globl	_ZN9rocsparseL42csr2bsr_nnz_block_per_row_multipass_kernelILj256ELj32EliEEvT2_S1_S1_S1_S1_21rocsparse_index_base_PKT1_PKS1_S2_PS3_ ; -- Begin function _ZN9rocsparseL42csr2bsr_nnz_block_per_row_multipass_kernelILj256ELj32EliEEvT2_S1_S1_S1_S1_21rocsparse_index_base_PKT1_PKS1_S2_PS3_
	.p2align	8
	.type	_ZN9rocsparseL42csr2bsr_nnz_block_per_row_multipass_kernelILj256ELj32EliEEvT2_S1_S1_S1_S1_21rocsparse_index_base_PKT1_PKS1_S2_PS3_,@function
_ZN9rocsparseL42csr2bsr_nnz_block_per_row_multipass_kernelILj256ELj32EliEEvT2_S1_S1_S1_S1_21rocsparse_index_base_PKT1_PKS1_S2_PS3_: ; @_ZN9rocsparseL42csr2bsr_nnz_block_per_row_multipass_kernelILj256ELj32EliEEvT2_S1_S1_S1_S1_21rocsparse_index_base_PKT1_PKS1_S2_PS3_
; %bb.0:
	s_clause 0x1
	s_load_b96 s[12:14], s[0:1], 0xc
	s_load_b32 s2, s[0:1], 0x0
	s_bfe_u32 s3, ttmp6, 0x4000c
	s_and_b32 s4, ttmp6, 15
	s_add_co_i32 s3, s3, 1
	s_getreg_b32 s5, hwreg(HW_REG_IB_STS2, 6, 4)
	s_mul_i32 s3, ttmp9, s3
	v_dual_mov_b32 v5, 0 :: v_dual_lshrrev_b32 v4, 3, v0
	s_add_co_i32 s4, s4, s3
	s_cmp_eq_u32 s5, 0
	v_mov_b64_e32 v[2:3], 0
	s_cselect_b32 s11, ttmp9, s4
	s_load_b64 s[4:5], s[0:1], 0x18
	v_mov_b64_e32 v[8:9], 0
	s_mov_b32 s3, 0
	ds_store_b32 v5, v5 offset:1024
	s_wait_dscnt 0x0
	s_barrier_signal -1
	s_barrier_wait -1
	s_wait_kmcnt 0x0
	v_mad_u32 v1, s13, s11, v4
	v_cmp_gt_i32_e32 vcc_lo, s13, v4
	s_delay_alu instid0(VALU_DEP_2) | instskip(SKIP_1) | instid1(SALU_CYCLE_1)
	v_cmp_gt_i32_e64 s2, s2, v1
	s_and_b32 s6, vcc_lo, s2
	s_and_saveexec_b32 s7, s6
	s_cbranch_execnz .LBB18_3
; %bb.1:
	s_or_b32 exec_lo, exec_lo, s7
	s_and_saveexec_b32 s2, s6
	s_cbranch_execnz .LBB18_4
.LBB18_2:
	s_or_b32 exec_lo, exec_lo, s2
	v_cmp_eq_u32_e64 s2, 0, v0
	s_cmp_lt_i32 s12, 1
	s_cbranch_scc0 .LBB18_5
	s_branch .LBB18_33
.LBB18_3:
	global_load_b64 v[4:5], v1, s[4:5] scale_offset
	s_mov_b32 s2, s14
	s_wait_loadcnt 0x0
	v_sub_nc_u64_e64 v[8:9], v[4:5], s[2:3]
	s_or_b32 exec_lo, exec_lo, s7
	s_and_saveexec_b32 s2, s6
	s_cbranch_execz .LBB18_2
.LBB18_4:
	global_load_b64 v[2:3], v1, s[4:5] offset:8 scale_offset
	s_wait_xcnt 0x0
	s_mov_b32 s5, 0
	s_mov_b32 s4, s14
	s_wait_loadcnt 0x0
	v_sub_nc_u64_e64 v[2:3], v[2:3], s[4:5]
	s_or_b32 exec_lo, exec_lo, s2
	v_cmp_eq_u32_e64 s2, 0, v0
	s_cmp_lt_i32 s12, 1
	s_cbranch_scc1 .LBB18_33
.LBB18_5:
	v_mbcnt_lo_u32_b32 v6, -1, 0
	s_abs_i32 s15, s13
	v_dual_mov_b32 v7, 0 :: v_dual_bitop2_b32 v4, 7, v0 bitop3:0x40
	s_cvt_f32_u32 s3, s15
	s_delay_alu instid0(VALU_DEP_2)
	v_xor_b32_e32 v5, 2, v6
	v_xor_b32_e32 v1, 4, v6
	;; [unrolled: 1-line block ×3, first 2 shown]
	v_rcp_iflag_f32_e32 v12, s3
	s_load_b64 s[16:17], s[0:1], 0x20
	s_sub_co_i32 s18, 0, s15
	v_cmp_gt_i32_e32 vcc_lo, 32, v1
	v_lshl_or_b32 v22, v6, 2, 28
	v_dual_mov_b32 v24, 1 :: v_dual_lshlrev_b32 v23, 2, v0
	s_delay_alu instid0(TRANS32_DEP_1)
	v_readfirstlane_b32 s6, v12
	v_cndmask_b32_e32 v1, v6, v1, vcc_lo
	v_cmp_gt_i32_e32 vcc_lo, 32, v5
	v_cmp_gt_u32_e64 s3, 0x80, v0
	v_cmp_gt_u32_e64 s4, 64, v0
	s_mul_f32 s9, s6, 0x4f7ffffe
	v_cmp_gt_u32_e64 s5, 32, v0
	v_dual_cndmask_b32 v11, v6, v5, vcc_lo :: v_dual_mov_b32 v5, v7
	v_cmp_gt_i32_e32 vcc_lo, 32, v10
	s_cvt_u32_f32 s10, s9
	v_lshlrev_b32_e32 v1, 2, v1
	v_cmp_gt_u32_e64 s6, 16, v0
	v_cmp_gt_u32_e64 s7, 8, v0
	v_dual_cndmask_b32 v10, v6, v10, vcc_lo :: v_dual_lshlrev_b32 v20, 2, v11
	s_mul_i32 s18, s18, s10
	v_cmp_gt_u32_e64 s8, 4, v0
	v_cmp_gt_u32_e64 s9, 2, v0
	s_delay_alu instid0(VALU_DEP_3)
	v_lshlrev_b32_e32 v21, 2, v10
	v_mov_b64_e32 v[10:11], 0
	s_mul_hi_u32 s18, s10, s18
	s_mov_b32 s19, 0
	s_ashr_i32 s13, s13, 31
	s_add_co_i32 s18, s10, s18
	s_branch .LBB18_7
.LBB18_6:                               ;   in Loop: Header=BB18_7 Depth=1
	s_or_b32 exec_lo, exec_lo, s10
	s_wait_dscnt 0x0
	s_barrier_signal -1
	s_barrier_wait -1
	ds_load_b32 v10, v7
	s_wait_dscnt 0x0
	s_barrier_signal -1
	s_barrier_wait -1
	v_cmp_gt_i32_e32 vcc_lo, s12, v10
	v_ashrrev_i32_e32 v11, 31, v10
	s_cbranch_vccz .LBB18_33
.LBB18_7:                               ; =>This Loop Header: Depth=1
                                        ;     Child Loop BB18_10 Depth 2
	v_add_nc_u64_e32 v[8:9], v[8:9], v[4:5]
	v_mov_b64_e32 v[12:13], v[2:3]
	v_mov_b32_e32 v25, s12
	s_mov_b32 s20, exec_lo
	ds_store_b8 v7, v7 offset:1028
	s_wait_dscnt 0x0
	s_barrier_signal -1
	s_barrier_wait -1
	v_cmpx_lt_i64_e64 v[8:9], v[2:3]
	s_cbranch_execz .LBB18_15
; %bb.8:                                ;   in Loop: Header=BB18_7 Depth=1
	v_mov_b64_e32 v[12:13], v[2:3]
	s_wait_kmcnt 0x0
	v_lshl_add_u64 v[14:15], v[8:9], 2, s[16:17]
	v_mov_b32_e32 v25, s12
	s_mov_b32 s21, 0
	s_branch .LBB18_10
.LBB18_9:                               ;   in Loop: Header=BB18_10 Depth=2
	s_or_b32 exec_lo, exec_lo, s10
	v_add_nc_u64_e32 v[8:9], 8, v[8:9]
	s_xor_b32 s22, vcc_lo, -1
	v_add_nc_u64_e32 v[14:15], 32, v[14:15]
	s_delay_alu instid0(VALU_DEP_2) | instskip(SKIP_1) | instid1(SALU_CYCLE_1)
	v_cmp_ge_i64_e64 s10, v[8:9], v[2:3]
	s_or_b32 s10, s22, s10
	s_and_b32 s10, exec_lo, s10
	s_delay_alu instid0(SALU_CYCLE_1) | instskip(NEXT) | instid1(SALU_CYCLE_1)
	s_or_b32 s21, s10, s21
	s_and_not1_b32 exec_lo, exec_lo, s21
	s_cbranch_execz .LBB18_14
.LBB18_10:                              ;   Parent Loop BB18_7 Depth=1
                                        ; =>  This Inner Loop Header: Depth=2
	global_load_b32 v6, v[14:15], off
	s_wait_loadcnt 0x0
	v_subrev_nc_u32_e32 v18, s14, v6
	s_delay_alu instid0(VALU_DEP_1) | instskip(NEXT) | instid1(VALU_DEP_1)
	v_sub_nc_u32_e32 v6, 0, v18
	v_max_i32_e32 v6, v18, v6
	s_delay_alu instid0(VALU_DEP_1) | instskip(NEXT) | instid1(VALU_DEP_1)
	v_mul_u64_e32 v[16:17], s[18:19], v[6:7]
	v_mul_lo_u32 v16, v17, s15
	s_delay_alu instid0(VALU_DEP_1) | instskip(NEXT) | instid1(VALU_DEP_1)
	v_dual_sub_nc_u32 v6, v6, v16 :: v_dual_add_nc_u32 v16, 1, v17
	v_cmp_le_u32_e32 vcc_lo, s15, v6
	s_delay_alu instid0(VALU_DEP_2) | instskip(SKIP_1) | instid1(VALU_DEP_1)
	v_dual_cndmask_b32 v16, v17, v16 :: v_dual_ashrrev_i32 v17, 31, v18
	v_subrev_nc_u32_e32 v19, s15, v6
	v_dual_add_nc_u32 v18, 1, v16 :: v_dual_cndmask_b32 v6, v6, v19, vcc_lo
	s_delay_alu instid0(VALU_DEP_1) | instskip(NEXT) | instid1(VALU_DEP_2)
	v_cmp_le_u32_e32 vcc_lo, s15, v6
	v_dual_cndmask_b32 v6, v16, v18, vcc_lo :: v_dual_bitop2_b32 v17, s13, v17 bitop3:0x14
	s_delay_alu instid0(VALU_DEP_1) | instskip(NEXT) | instid1(VALU_DEP_1)
	v_xor_b32_e32 v6, v6, v17
	v_sub_nc_u32_e32 v18, v6, v17
	v_mov_b64_e32 v[16:17], v[12:13]
	s_delay_alu instid0(VALU_DEP_2) | instskip(NEXT) | instid1(VALU_DEP_1)
	v_ashrrev_i32_e32 v19, 31, v18
	v_cmp_ne_u64_e64 s10, v[10:11], v[18:19]
	v_cmp_eq_u64_e32 vcc_lo, v[10:11], v[18:19]
	s_wait_xcnt 0x0
	s_and_saveexec_b32 s22, s10
	s_delay_alu instid0(SALU_CYCLE_1)
	s_xor_b32 s10, exec_lo, s22
; %bb.11:                               ;   in Loop: Header=BB18_10 Depth=2
	v_min_i32_e32 v25, v18, v25
                                        ; implicit-def: $vgpr16_vgpr17
; %bb.12:                               ;   in Loop: Header=BB18_10 Depth=2
	s_or_saveexec_b32 s10, s10
	v_mov_b64_e32 v[12:13], v[8:9]
	s_xor_b32 exec_lo, exec_lo, s10
	s_cbranch_execz .LBB18_9
; %bb.13:                               ;   in Loop: Header=BB18_10 Depth=2
	v_mov_b64_e32 v[12:13], v[16:17]
	ds_store_b8 v7, v24 offset:1028
	s_branch .LBB18_9
.LBB18_14:                              ;   in Loop: Header=BB18_7 Depth=1
	s_or_b32 exec_lo, exec_lo, s21
.LBB18_15:                              ;   in Loop: Header=BB18_7 Depth=1
	s_delay_alu instid0(SALU_CYCLE_1)
	s_or_b32 exec_lo, exec_lo, s20
	ds_bpermute_b32 v8, v1, v12
	ds_bpermute_b32 v9, v1, v13
	s_wait_dscnt 0x0
	s_barrier_signal -1
	s_barrier_wait -1
	ds_load_u8 v6, v7 offset:1028
	v_min_i64 v[8:9], v[8:9], v[12:13]
	s_wait_dscnt 0x0
	v_readfirstlane_b32 s10, v6
	s_bitcmp1_b32 s10, 0
	s_cselect_b32 s10, -1, 0
	s_delay_alu instid0(SALU_CYCLE_1)
	s_and_b32 s20, s2, s10
	ds_bpermute_b32 v10, v20, v8
	ds_bpermute_b32 v11, v20, v9
	s_wait_dscnt 0x0
	v_min_i64 v[8:9], v[10:11], v[8:9]
	ds_bpermute_b32 v10, v21, v8
	ds_bpermute_b32 v11, v21, v9
	s_wait_dscnt 0x0
	v_min_i64 v[8:9], v[10:11], v[8:9]
	ds_bpermute_b32 v8, v22, v8
	ds_bpermute_b32 v9, v22, v9
	s_and_saveexec_b32 s10, s20
	s_cbranch_execz .LBB18_17
; %bb.16:                               ;   in Loop: Header=BB18_7 Depth=1
	ds_load_b32 v6, v7 offset:1024
	s_wait_dscnt 0x0
	v_add_nc_u32_e32 v6, 1, v6
	ds_store_b32 v7, v6 offset:1024
.LBB18_17:                              ;   in Loop: Header=BB18_7 Depth=1
	s_or_b32 exec_lo, exec_lo, s10
	ds_store_b32 v23, v25
	s_wait_dscnt 0x0
	s_barrier_signal -1
	s_barrier_wait -1
	s_and_saveexec_b32 s10, s3
	s_cbranch_execz .LBB18_19
; %bb.18:                               ;   in Loop: Header=BB18_7 Depth=1
	ds_load_2addr_stride64_b32 v[10:11], v23 offset1:2
	s_wait_dscnt 0x0
	v_min_i32_e32 v6, v11, v10
	ds_store_b32 v23, v6
.LBB18_19:                              ;   in Loop: Header=BB18_7 Depth=1
	s_or_b32 exec_lo, exec_lo, s10
	s_wait_dscnt 0x0
	s_barrier_signal -1
	s_barrier_wait -1
	s_and_saveexec_b32 s10, s4
	s_cbranch_execz .LBB18_21
; %bb.20:                               ;   in Loop: Header=BB18_7 Depth=1
	ds_load_2addr_stride64_b32 v[10:11], v23 offset1:1
	s_wait_dscnt 0x0
	v_min_i32_e32 v6, v11, v10
	ds_store_b32 v23, v6
.LBB18_21:                              ;   in Loop: Header=BB18_7 Depth=1
	s_or_b32 exec_lo, exec_lo, s10
	s_wait_dscnt 0x0
	s_barrier_signal -1
	s_barrier_wait -1
	s_and_saveexec_b32 s10, s5
	s_cbranch_execz .LBB18_23
; %bb.22:                               ;   in Loop: Header=BB18_7 Depth=1
	ds_load_2addr_b32 v[10:11], v23 offset1:32
	s_wait_dscnt 0x0
	v_min_i32_e32 v6, v11, v10
	ds_store_b32 v23, v6
.LBB18_23:                              ;   in Loop: Header=BB18_7 Depth=1
	s_or_b32 exec_lo, exec_lo, s10
	s_wait_dscnt 0x0
	s_barrier_signal -1
	s_barrier_wait -1
	s_and_saveexec_b32 s10, s6
	s_cbranch_execz .LBB18_25
; %bb.24:                               ;   in Loop: Header=BB18_7 Depth=1
	ds_load_2addr_b32 v[10:11], v23 offset1:16
	s_wait_dscnt 0x0
	v_min_i32_e32 v6, v11, v10
	ds_store_b32 v23, v6
.LBB18_25:                              ;   in Loop: Header=BB18_7 Depth=1
	;; [unrolled: 12-line block ×5, first 2 shown]
	s_or_b32 exec_lo, exec_lo, s10
	s_wait_dscnt 0x0
	s_barrier_signal -1
	s_barrier_wait -1
	s_and_saveexec_b32 s10, s2
	s_cbranch_execz .LBB18_6
; %bb.32:                               ;   in Loop: Header=BB18_7 Depth=1
	ds_load_b64 v[10:11], v7
	s_wait_dscnt 0x0
	v_min_i32_e32 v6, v11, v10
	ds_store_b32 v7, v6
	s_branch .LBB18_6
.LBB18_33:
	s_mov_b32 s2, exec_lo
	v_cmpx_eq_u32_e32 0, v0
	s_cbranch_execz .LBB18_35
; %bb.34:
	s_load_b32 s2, s[0:1], 0x28
	v_mov_b32_e32 v1, 0
	s_wait_xcnt 0x0
	s_load_b64 s[0:1], s[0:1], 0x30
	s_wait_kmcnt 0x0
	v_dual_mov_b32 v4, s11 :: v_dual_mov_b32 v0, s2
	ds_load_b32 v2, v1 offset:1024
	s_wait_dscnt 0x0
	v_ashrrev_i32_e32 v3, 31, v2
	s_clause 0x1
	global_store_b64 v1, v[0:1], s[0:1]
	global_store_b64 v4, v[2:3], s[0:1] offset:8 scale_offset
.LBB18_35:
	s_endpgm
	.section	.rodata,"a",@progbits
	.p2align	6, 0x0
	.amdhsa_kernel _ZN9rocsparseL42csr2bsr_nnz_block_per_row_multipass_kernelILj256ELj32EliEEvT2_S1_S1_S1_S1_21rocsparse_index_base_PKT1_PKS1_S2_PS3_
		.amdhsa_group_segment_fixed_size 1032
		.amdhsa_private_segment_fixed_size 0
		.amdhsa_kernarg_size 56
		.amdhsa_user_sgpr_count 2
		.amdhsa_user_sgpr_dispatch_ptr 0
		.amdhsa_user_sgpr_queue_ptr 0
		.amdhsa_user_sgpr_kernarg_segment_ptr 1
		.amdhsa_user_sgpr_dispatch_id 0
		.amdhsa_user_sgpr_kernarg_preload_length 0
		.amdhsa_user_sgpr_kernarg_preload_offset 0
		.amdhsa_user_sgpr_private_segment_size 0
		.amdhsa_wavefront_size32 1
		.amdhsa_uses_dynamic_stack 0
		.amdhsa_enable_private_segment 0
		.amdhsa_system_sgpr_workgroup_id_x 1
		.amdhsa_system_sgpr_workgroup_id_y 0
		.amdhsa_system_sgpr_workgroup_id_z 0
		.amdhsa_system_sgpr_workgroup_info 0
		.amdhsa_system_vgpr_workitem_id 0
		.amdhsa_next_free_vgpr 26
		.amdhsa_next_free_sgpr 23
		.amdhsa_named_barrier_count 0
		.amdhsa_reserve_vcc 1
		.amdhsa_float_round_mode_32 0
		.amdhsa_float_round_mode_16_64 0
		.amdhsa_float_denorm_mode_32 3
		.amdhsa_float_denorm_mode_16_64 3
		.amdhsa_fp16_overflow 0
		.amdhsa_memory_ordered 1
		.amdhsa_forward_progress 1
		.amdhsa_inst_pref_size 13
		.amdhsa_round_robin_scheduling 0
		.amdhsa_exception_fp_ieee_invalid_op 0
		.amdhsa_exception_fp_denorm_src 0
		.amdhsa_exception_fp_ieee_div_zero 0
		.amdhsa_exception_fp_ieee_overflow 0
		.amdhsa_exception_fp_ieee_underflow 0
		.amdhsa_exception_fp_ieee_inexact 0
		.amdhsa_exception_int_div_zero 0
	.end_amdhsa_kernel
	.section	.text._ZN9rocsparseL42csr2bsr_nnz_block_per_row_multipass_kernelILj256ELj32EliEEvT2_S1_S1_S1_S1_21rocsparse_index_base_PKT1_PKS1_S2_PS3_,"axG",@progbits,_ZN9rocsparseL42csr2bsr_nnz_block_per_row_multipass_kernelILj256ELj32EliEEvT2_S1_S1_S1_S1_21rocsparse_index_base_PKT1_PKS1_S2_PS3_,comdat
.Lfunc_end18:
	.size	_ZN9rocsparseL42csr2bsr_nnz_block_per_row_multipass_kernelILj256ELj32EliEEvT2_S1_S1_S1_S1_21rocsparse_index_base_PKT1_PKS1_S2_PS3_, .Lfunc_end18-_ZN9rocsparseL42csr2bsr_nnz_block_per_row_multipass_kernelILj256ELj32EliEEvT2_S1_S1_S1_S1_21rocsparse_index_base_PKT1_PKS1_S2_PS3_
                                        ; -- End function
	.set _ZN9rocsparseL42csr2bsr_nnz_block_per_row_multipass_kernelILj256ELj32EliEEvT2_S1_S1_S1_S1_21rocsparse_index_base_PKT1_PKS1_S2_PS3_.num_vgpr, 26
	.set _ZN9rocsparseL42csr2bsr_nnz_block_per_row_multipass_kernelILj256ELj32EliEEvT2_S1_S1_S1_S1_21rocsparse_index_base_PKT1_PKS1_S2_PS3_.num_agpr, 0
	.set _ZN9rocsparseL42csr2bsr_nnz_block_per_row_multipass_kernelILj256ELj32EliEEvT2_S1_S1_S1_S1_21rocsparse_index_base_PKT1_PKS1_S2_PS3_.numbered_sgpr, 23
	.set _ZN9rocsparseL42csr2bsr_nnz_block_per_row_multipass_kernelILj256ELj32EliEEvT2_S1_S1_S1_S1_21rocsparse_index_base_PKT1_PKS1_S2_PS3_.num_named_barrier, 0
	.set _ZN9rocsparseL42csr2bsr_nnz_block_per_row_multipass_kernelILj256ELj32EliEEvT2_S1_S1_S1_S1_21rocsparse_index_base_PKT1_PKS1_S2_PS3_.private_seg_size, 0
	.set _ZN9rocsparseL42csr2bsr_nnz_block_per_row_multipass_kernelILj256ELj32EliEEvT2_S1_S1_S1_S1_21rocsparse_index_base_PKT1_PKS1_S2_PS3_.uses_vcc, 1
	.set _ZN9rocsparseL42csr2bsr_nnz_block_per_row_multipass_kernelILj256ELj32EliEEvT2_S1_S1_S1_S1_21rocsparse_index_base_PKT1_PKS1_S2_PS3_.uses_flat_scratch, 0
	.set _ZN9rocsparseL42csr2bsr_nnz_block_per_row_multipass_kernelILj256ELj32EliEEvT2_S1_S1_S1_S1_21rocsparse_index_base_PKT1_PKS1_S2_PS3_.has_dyn_sized_stack, 0
	.set _ZN9rocsparseL42csr2bsr_nnz_block_per_row_multipass_kernelILj256ELj32EliEEvT2_S1_S1_S1_S1_21rocsparse_index_base_PKT1_PKS1_S2_PS3_.has_recursion, 0
	.set _ZN9rocsparseL42csr2bsr_nnz_block_per_row_multipass_kernelILj256ELj32EliEEvT2_S1_S1_S1_S1_21rocsparse_index_base_PKT1_PKS1_S2_PS3_.has_indirect_call, 0
	.section	.AMDGPU.csdata,"",@progbits
; Kernel info:
; codeLenInByte = 1572
; TotalNumSgprs: 25
; NumVgprs: 26
; ScratchSize: 0
; MemoryBound: 0
; FloatMode: 240
; IeeeMode: 1
; LDSByteSize: 1032 bytes/workgroup (compile time only)
; SGPRBlocks: 0
; VGPRBlocks: 1
; NumSGPRsForWavesPerEU: 25
; NumVGPRsForWavesPerEU: 26
; NamedBarCnt: 0
; Occupancy: 16
; WaveLimiterHint : 0
; COMPUTE_PGM_RSRC2:SCRATCH_EN: 0
; COMPUTE_PGM_RSRC2:USER_SGPR: 2
; COMPUTE_PGM_RSRC2:TRAP_HANDLER: 0
; COMPUTE_PGM_RSRC2:TGID_X_EN: 1
; COMPUTE_PGM_RSRC2:TGID_Y_EN: 0
; COMPUTE_PGM_RSRC2:TGID_Z_EN: 0
; COMPUTE_PGM_RSRC2:TIDIG_COMP_CNT: 0
	.section	.text._ZN9rocsparseL42csr2bsr_nnz_block_per_row_multipass_kernelILj256ELj64EliEEvT2_S1_S1_S1_S1_21rocsparse_index_base_PKT1_PKS1_S2_PS3_,"axG",@progbits,_ZN9rocsparseL42csr2bsr_nnz_block_per_row_multipass_kernelILj256ELj64EliEEvT2_S1_S1_S1_S1_21rocsparse_index_base_PKT1_PKS1_S2_PS3_,comdat
	.globl	_ZN9rocsparseL42csr2bsr_nnz_block_per_row_multipass_kernelILj256ELj64EliEEvT2_S1_S1_S1_S1_21rocsparse_index_base_PKT1_PKS1_S2_PS3_ ; -- Begin function _ZN9rocsparseL42csr2bsr_nnz_block_per_row_multipass_kernelILj256ELj64EliEEvT2_S1_S1_S1_S1_21rocsparse_index_base_PKT1_PKS1_S2_PS3_
	.p2align	8
	.type	_ZN9rocsparseL42csr2bsr_nnz_block_per_row_multipass_kernelILj256ELj64EliEEvT2_S1_S1_S1_S1_21rocsparse_index_base_PKT1_PKS1_S2_PS3_,@function
_ZN9rocsparseL42csr2bsr_nnz_block_per_row_multipass_kernelILj256ELj64EliEEvT2_S1_S1_S1_S1_21rocsparse_index_base_PKT1_PKS1_S2_PS3_: ; @_ZN9rocsparseL42csr2bsr_nnz_block_per_row_multipass_kernelILj256ELj64EliEEvT2_S1_S1_S1_S1_21rocsparse_index_base_PKT1_PKS1_S2_PS3_
; %bb.0:
	s_clause 0x1
	s_load_b96 s[12:14], s[0:1], 0xc
	s_load_b32 s2, s[0:1], 0x0
	s_bfe_u32 s3, ttmp6, 0x4000c
	s_and_b32 s4, ttmp6, 15
	s_add_co_i32 s3, s3, 1
	s_getreg_b32 s5, hwreg(HW_REG_IB_STS2, 6, 4)
	s_mul_i32 s3, ttmp9, s3
	v_dual_mov_b32 v5, 0 :: v_dual_lshrrev_b32 v4, 2, v0
	s_add_co_i32 s4, s4, s3
	s_cmp_eq_u32 s5, 0
	v_mov_b64_e32 v[2:3], 0
	s_cselect_b32 s11, ttmp9, s4
	s_load_b64 s[4:5], s[0:1], 0x18
	v_mov_b64_e32 v[8:9], 0
	s_mov_b32 s3, 0
	ds_store_b32 v5, v5 offset:1024
	s_wait_dscnt 0x0
	s_barrier_signal -1
	s_barrier_wait -1
	s_wait_kmcnt 0x0
	v_mad_u32 v1, s13, s11, v4
	v_cmp_gt_i32_e32 vcc_lo, s13, v4
	s_delay_alu instid0(VALU_DEP_2) | instskip(SKIP_1) | instid1(SALU_CYCLE_1)
	v_cmp_gt_i32_e64 s2, s2, v1
	s_and_b32 s6, vcc_lo, s2
	s_and_saveexec_b32 s7, s6
	s_cbranch_execnz .LBB19_3
; %bb.1:
	s_or_b32 exec_lo, exec_lo, s7
	s_and_saveexec_b32 s2, s6
	s_cbranch_execnz .LBB19_4
.LBB19_2:
	s_or_b32 exec_lo, exec_lo, s2
	v_cmp_eq_u32_e64 s2, 0, v0
	s_cmp_lt_i32 s12, 1
	s_cbranch_scc0 .LBB19_5
	s_branch .LBB19_33
.LBB19_3:
	global_load_b64 v[4:5], v1, s[4:5] scale_offset
	s_mov_b32 s2, s14
	s_wait_loadcnt 0x0
	v_sub_nc_u64_e64 v[8:9], v[4:5], s[2:3]
	s_or_b32 exec_lo, exec_lo, s7
	s_and_saveexec_b32 s2, s6
	s_cbranch_execz .LBB19_2
.LBB19_4:
	global_load_b64 v[2:3], v1, s[4:5] offset:8 scale_offset
	s_wait_xcnt 0x0
	s_mov_b32 s5, 0
	s_mov_b32 s4, s14
	s_wait_loadcnt 0x0
	v_sub_nc_u64_e64 v[2:3], v[2:3], s[4:5]
	s_or_b32 exec_lo, exec_lo, s2
	v_cmp_eq_u32_e64 s2, 0, v0
	s_cmp_lt_i32 s12, 1
	s_cbranch_scc1 .LBB19_33
.LBB19_5:
	v_mbcnt_lo_u32_b32 v4, -1, 0
	s_abs_i32 s15, s13
	s_load_b64 s[16:17], s[0:1], 0x20
	s_cvt_f32_u32 s3, s15
	s_sub_co_i32 s18, 0, s15
	v_dual_mov_b32 v5, 0 :: v_dual_bitop2_b32 v1, 2, v4 bitop3:0x14
	s_delay_alu instid0(SALU_CYCLE_1) | instskip(SKIP_2) | instid1(VALU_DEP_3)
	v_rcp_iflag_f32_e32 v10, s3
	v_lshl_or_b32 v21, v4, 2, 12
	v_cmp_gt_u32_e64 s3, 0x80, v0
	v_cmp_gt_i32_e32 vcc_lo, 32, v1
	v_xor_b32_e32 v6, 1, v4
	v_cmp_gt_u32_e64 s4, 64, v0
	v_cmp_gt_u32_e64 s5, 32, v0
	v_readfirstlane_b32 s6, v10
	v_cndmask_b32_e32 v1, v4, v1, vcc_lo
	v_cmp_gt_i32_e32 vcc_lo, 32, v6
	v_mov_b32_e32 v7, v5
	v_cmp_gt_u32_e64 s7, 8, v0
	s_mul_f32 s9, s6, 0x4f7ffffe
	v_dual_lshlrev_b32 v1, 2, v1 :: v_dual_cndmask_b32 v11, v4, v6, vcc_lo
	v_and_b32_e32 v6, 3, v0
	s_delay_alu instid0(SALU_CYCLE_1) | instskip(SKIP_1) | instid1(VALU_DEP_3)
	s_cvt_u32_f32 s10, s9
	v_cmp_gt_u32_e64 s6, 16, v0
	v_dual_lshlrev_b32 v22, 2, v0 :: v_dual_lshlrev_b32 v20, 2, v11
	v_mov_b64_e32 v[10:11], 0
	s_mul_i32 s18, s18, s10
	v_cmp_gt_u32_e64 s8, 4, v0
	v_cmp_gt_u32_e64 s9, 2, v0
	v_mov_b32_e32 v23, 1
	s_mul_hi_u32 s18, s10, s18
	s_mov_b32 s19, 0
	s_ashr_i32 s13, s13, 31
	s_add_co_i32 s18, s10, s18
	s_branch .LBB19_7
.LBB19_6:                               ;   in Loop: Header=BB19_7 Depth=1
	s_or_b32 exec_lo, exec_lo, s10
	s_wait_dscnt 0x0
	s_barrier_signal -1
	s_barrier_wait -1
	ds_load_b32 v10, v5
	s_wait_dscnt 0x0
	s_barrier_signal -1
	s_barrier_wait -1
	v_cmp_gt_i32_e32 vcc_lo, s12, v10
	v_ashrrev_i32_e32 v11, 31, v10
	s_cbranch_vccz .LBB19_33
.LBB19_7:                               ; =>This Loop Header: Depth=1
                                        ;     Child Loop BB19_10 Depth 2
	v_add_nc_u64_e32 v[8:9], v[8:9], v[6:7]
	v_mov_b64_e32 v[12:13], v[2:3]
	v_mov_b32_e32 v24, s12
	s_mov_b32 s20, exec_lo
	ds_store_b8 v5, v5 offset:1028
	s_wait_dscnt 0x0
	s_barrier_signal -1
	s_barrier_wait -1
	v_cmpx_lt_i64_e64 v[8:9], v[2:3]
	s_cbranch_execz .LBB19_15
; %bb.8:                                ;   in Loop: Header=BB19_7 Depth=1
	v_mov_b64_e32 v[12:13], v[2:3]
	s_wait_kmcnt 0x0
	v_lshl_add_u64 v[14:15], v[8:9], 2, s[16:17]
	v_mov_b32_e32 v24, s12
	s_mov_b32 s21, 0
	s_branch .LBB19_10
.LBB19_9:                               ;   in Loop: Header=BB19_10 Depth=2
	s_or_b32 exec_lo, exec_lo, s10
	v_add_nc_u64_e32 v[8:9], 4, v[8:9]
	s_xor_b32 s22, vcc_lo, -1
	v_add_nc_u64_e32 v[14:15], 16, v[14:15]
	s_delay_alu instid0(VALU_DEP_2) | instskip(SKIP_1) | instid1(SALU_CYCLE_1)
	v_cmp_ge_i64_e64 s10, v[8:9], v[2:3]
	s_or_b32 s10, s22, s10
	s_and_b32 s10, exec_lo, s10
	s_delay_alu instid0(SALU_CYCLE_1) | instskip(NEXT) | instid1(SALU_CYCLE_1)
	s_or_b32 s21, s10, s21
	s_and_not1_b32 exec_lo, exec_lo, s21
	s_cbranch_execz .LBB19_14
.LBB19_10:                              ;   Parent Loop BB19_7 Depth=1
                                        ; =>  This Inner Loop Header: Depth=2
	global_load_b32 v4, v[14:15], off
	s_wait_loadcnt 0x0
	v_subrev_nc_u32_e32 v18, s14, v4
	s_delay_alu instid0(VALU_DEP_1) | instskip(NEXT) | instid1(VALU_DEP_1)
	v_sub_nc_u32_e32 v4, 0, v18
	v_max_i32_e32 v4, v18, v4
	s_delay_alu instid0(VALU_DEP_1) | instskip(NEXT) | instid1(VALU_DEP_1)
	v_mul_u64_e32 v[16:17], s[18:19], v[4:5]
	v_mul_lo_u32 v16, v17, s15
	s_delay_alu instid0(VALU_DEP_1) | instskip(NEXT) | instid1(VALU_DEP_1)
	v_dual_sub_nc_u32 v4, v4, v16 :: v_dual_add_nc_u32 v16, 1, v17
	v_cmp_le_u32_e32 vcc_lo, s15, v4
	s_delay_alu instid0(VALU_DEP_2) | instskip(SKIP_1) | instid1(VALU_DEP_2)
	v_cndmask_b32_e32 v16, v17, v16, vcc_lo
	v_subrev_nc_u32_e32 v19, s15, v4
	v_dual_ashrrev_i32 v17, 31, v18 :: v_dual_add_nc_u32 v18, 1, v16
	s_delay_alu instid0(VALU_DEP_2) | instskip(NEXT) | instid1(VALU_DEP_1)
	v_cndmask_b32_e32 v4, v4, v19, vcc_lo
	v_cmp_le_u32_e32 vcc_lo, s15, v4
	s_delay_alu instid0(VALU_DEP_3) | instskip(NEXT) | instid1(VALU_DEP_1)
	v_dual_cndmask_b32 v4, v16, v18, vcc_lo :: v_dual_bitop2_b32 v17, s13, v17 bitop3:0x14
	v_xor_b32_e32 v4, v4, v17
	s_delay_alu instid0(VALU_DEP_1) | instskip(SKIP_1) | instid1(VALU_DEP_2)
	v_sub_nc_u32_e32 v18, v4, v17
	v_mov_b64_e32 v[16:17], v[12:13]
	v_ashrrev_i32_e32 v19, 31, v18
	s_delay_alu instid0(VALU_DEP_1) | instskip(SKIP_3) | instid1(SALU_CYCLE_1)
	v_cmp_ne_u64_e64 s10, v[10:11], v[18:19]
	v_cmp_eq_u64_e32 vcc_lo, v[10:11], v[18:19]
	s_wait_xcnt 0x0
	s_and_saveexec_b32 s22, s10
	s_xor_b32 s10, exec_lo, s22
; %bb.11:                               ;   in Loop: Header=BB19_10 Depth=2
	v_min_i32_e32 v24, v18, v24
                                        ; implicit-def: $vgpr16_vgpr17
; %bb.12:                               ;   in Loop: Header=BB19_10 Depth=2
	s_or_saveexec_b32 s10, s10
	v_mov_b64_e32 v[12:13], v[8:9]
	s_xor_b32 exec_lo, exec_lo, s10
	s_cbranch_execz .LBB19_9
; %bb.13:                               ;   in Loop: Header=BB19_10 Depth=2
	v_mov_b64_e32 v[12:13], v[16:17]
	ds_store_b8 v5, v23 offset:1028
	s_branch .LBB19_9
.LBB19_14:                              ;   in Loop: Header=BB19_7 Depth=1
	s_or_b32 exec_lo, exec_lo, s21
.LBB19_15:                              ;   in Loop: Header=BB19_7 Depth=1
	s_delay_alu instid0(SALU_CYCLE_1)
	s_or_b32 exec_lo, exec_lo, s20
	ds_bpermute_b32 v8, v1, v12
	ds_bpermute_b32 v9, v1, v13
	s_wait_dscnt 0x0
	s_barrier_signal -1
	s_barrier_wait -1
	ds_load_u8 v4, v5 offset:1028
	v_min_i64 v[8:9], v[8:9], v[12:13]
	s_wait_dscnt 0x0
	v_readfirstlane_b32 s10, v4
	s_bitcmp1_b32 s10, 0
	s_cselect_b32 s10, -1, 0
	s_delay_alu instid0(SALU_CYCLE_1)
	s_and_b32 s20, s2, s10
	ds_bpermute_b32 v10, v20, v8
	ds_bpermute_b32 v11, v20, v9
	s_wait_dscnt 0x0
	v_min_i64 v[8:9], v[10:11], v[8:9]
	ds_bpermute_b32 v8, v21, v8
	ds_bpermute_b32 v9, v21, v9
	s_and_saveexec_b32 s10, s20
	s_cbranch_execz .LBB19_17
; %bb.16:                               ;   in Loop: Header=BB19_7 Depth=1
	ds_load_b32 v4, v5 offset:1024
	s_wait_dscnt 0x0
	v_add_nc_u32_e32 v4, 1, v4
	ds_store_b32 v5, v4 offset:1024
.LBB19_17:                              ;   in Loop: Header=BB19_7 Depth=1
	s_or_b32 exec_lo, exec_lo, s10
	ds_store_b32 v22, v24
	s_wait_dscnt 0x0
	s_barrier_signal -1
	s_barrier_wait -1
	s_and_saveexec_b32 s10, s3
	s_cbranch_execz .LBB19_19
; %bb.18:                               ;   in Loop: Header=BB19_7 Depth=1
	ds_load_2addr_stride64_b32 v[10:11], v22 offset1:2
	s_wait_dscnt 0x0
	v_min_i32_e32 v4, v11, v10
	ds_store_b32 v22, v4
.LBB19_19:                              ;   in Loop: Header=BB19_7 Depth=1
	s_or_b32 exec_lo, exec_lo, s10
	s_wait_dscnt 0x0
	s_barrier_signal -1
	s_barrier_wait -1
	s_and_saveexec_b32 s10, s4
	s_cbranch_execz .LBB19_21
; %bb.20:                               ;   in Loop: Header=BB19_7 Depth=1
	ds_load_2addr_stride64_b32 v[10:11], v22 offset1:1
	s_wait_dscnt 0x0
	v_min_i32_e32 v4, v11, v10
	ds_store_b32 v22, v4
.LBB19_21:                              ;   in Loop: Header=BB19_7 Depth=1
	s_or_b32 exec_lo, exec_lo, s10
	s_wait_dscnt 0x0
	s_barrier_signal -1
	s_barrier_wait -1
	s_and_saveexec_b32 s10, s5
	s_cbranch_execz .LBB19_23
; %bb.22:                               ;   in Loop: Header=BB19_7 Depth=1
	ds_load_2addr_b32 v[10:11], v22 offset1:32
	s_wait_dscnt 0x0
	v_min_i32_e32 v4, v11, v10
	ds_store_b32 v22, v4
.LBB19_23:                              ;   in Loop: Header=BB19_7 Depth=1
	s_or_b32 exec_lo, exec_lo, s10
	s_wait_dscnt 0x0
	s_barrier_signal -1
	s_barrier_wait -1
	s_and_saveexec_b32 s10, s6
	s_cbranch_execz .LBB19_25
; %bb.24:                               ;   in Loop: Header=BB19_7 Depth=1
	ds_load_2addr_b32 v[10:11], v22 offset1:16
	s_wait_dscnt 0x0
	v_min_i32_e32 v4, v11, v10
	ds_store_b32 v22, v4
.LBB19_25:                              ;   in Loop: Header=BB19_7 Depth=1
	;; [unrolled: 12-line block ×5, first 2 shown]
	s_or_b32 exec_lo, exec_lo, s10
	s_wait_dscnt 0x0
	s_barrier_signal -1
	s_barrier_wait -1
	s_and_saveexec_b32 s10, s2
	s_cbranch_execz .LBB19_6
; %bb.32:                               ;   in Loop: Header=BB19_7 Depth=1
	ds_load_b64 v[10:11], v5
	s_wait_dscnt 0x0
	v_min_i32_e32 v4, v11, v10
	ds_store_b32 v5, v4
	s_branch .LBB19_6
.LBB19_33:
	s_mov_b32 s2, exec_lo
	v_cmpx_eq_u32_e32 0, v0
	s_cbranch_execz .LBB19_35
; %bb.34:
	s_load_b32 s2, s[0:1], 0x28
	v_mov_b32_e32 v1, 0
	s_wait_xcnt 0x0
	s_load_b64 s[0:1], s[0:1], 0x30
	s_wait_kmcnt 0x0
	v_dual_mov_b32 v4, s11 :: v_dual_mov_b32 v0, s2
	ds_load_b32 v2, v1 offset:1024
	s_wait_dscnt 0x0
	v_ashrrev_i32_e32 v3, 31, v2
	s_clause 0x1
	global_store_b64 v1, v[0:1], s[0:1]
	global_store_b64 v4, v[2:3], s[0:1] offset:8 scale_offset
.LBB19_35:
	s_endpgm
	.section	.rodata,"a",@progbits
	.p2align	6, 0x0
	.amdhsa_kernel _ZN9rocsparseL42csr2bsr_nnz_block_per_row_multipass_kernelILj256ELj64EliEEvT2_S1_S1_S1_S1_21rocsparse_index_base_PKT1_PKS1_S2_PS3_
		.amdhsa_group_segment_fixed_size 1032
		.amdhsa_private_segment_fixed_size 0
		.amdhsa_kernarg_size 56
		.amdhsa_user_sgpr_count 2
		.amdhsa_user_sgpr_dispatch_ptr 0
		.amdhsa_user_sgpr_queue_ptr 0
		.amdhsa_user_sgpr_kernarg_segment_ptr 1
		.amdhsa_user_sgpr_dispatch_id 0
		.amdhsa_user_sgpr_kernarg_preload_length 0
		.amdhsa_user_sgpr_kernarg_preload_offset 0
		.amdhsa_user_sgpr_private_segment_size 0
		.amdhsa_wavefront_size32 1
		.amdhsa_uses_dynamic_stack 0
		.amdhsa_enable_private_segment 0
		.amdhsa_system_sgpr_workgroup_id_x 1
		.amdhsa_system_sgpr_workgroup_id_y 0
		.amdhsa_system_sgpr_workgroup_id_z 0
		.amdhsa_system_sgpr_workgroup_info 0
		.amdhsa_system_vgpr_workitem_id 0
		.amdhsa_next_free_vgpr 25
		.amdhsa_next_free_sgpr 23
		.amdhsa_named_barrier_count 0
		.amdhsa_reserve_vcc 1
		.amdhsa_float_round_mode_32 0
		.amdhsa_float_round_mode_16_64 0
		.amdhsa_float_denorm_mode_32 3
		.amdhsa_float_denorm_mode_16_64 3
		.amdhsa_fp16_overflow 0
		.amdhsa_memory_ordered 1
		.amdhsa_forward_progress 1
		.amdhsa_inst_pref_size 12
		.amdhsa_round_robin_scheduling 0
		.amdhsa_exception_fp_ieee_invalid_op 0
		.amdhsa_exception_fp_denorm_src 0
		.amdhsa_exception_fp_ieee_div_zero 0
		.amdhsa_exception_fp_ieee_overflow 0
		.amdhsa_exception_fp_ieee_underflow 0
		.amdhsa_exception_fp_ieee_inexact 0
		.amdhsa_exception_int_div_zero 0
	.end_amdhsa_kernel
	.section	.text._ZN9rocsparseL42csr2bsr_nnz_block_per_row_multipass_kernelILj256ELj64EliEEvT2_S1_S1_S1_S1_21rocsparse_index_base_PKT1_PKS1_S2_PS3_,"axG",@progbits,_ZN9rocsparseL42csr2bsr_nnz_block_per_row_multipass_kernelILj256ELj64EliEEvT2_S1_S1_S1_S1_21rocsparse_index_base_PKT1_PKS1_S2_PS3_,comdat
.Lfunc_end19:
	.size	_ZN9rocsparseL42csr2bsr_nnz_block_per_row_multipass_kernelILj256ELj64EliEEvT2_S1_S1_S1_S1_21rocsparse_index_base_PKT1_PKS1_S2_PS3_, .Lfunc_end19-_ZN9rocsparseL42csr2bsr_nnz_block_per_row_multipass_kernelILj256ELj64EliEEvT2_S1_S1_S1_S1_21rocsparse_index_base_PKT1_PKS1_S2_PS3_
                                        ; -- End function
	.set _ZN9rocsparseL42csr2bsr_nnz_block_per_row_multipass_kernelILj256ELj64EliEEvT2_S1_S1_S1_S1_21rocsparse_index_base_PKT1_PKS1_S2_PS3_.num_vgpr, 25
	.set _ZN9rocsparseL42csr2bsr_nnz_block_per_row_multipass_kernelILj256ELj64EliEEvT2_S1_S1_S1_S1_21rocsparse_index_base_PKT1_PKS1_S2_PS3_.num_agpr, 0
	.set _ZN9rocsparseL42csr2bsr_nnz_block_per_row_multipass_kernelILj256ELj64EliEEvT2_S1_S1_S1_S1_21rocsparse_index_base_PKT1_PKS1_S2_PS3_.numbered_sgpr, 23
	.set _ZN9rocsparseL42csr2bsr_nnz_block_per_row_multipass_kernelILj256ELj64EliEEvT2_S1_S1_S1_S1_21rocsparse_index_base_PKT1_PKS1_S2_PS3_.num_named_barrier, 0
	.set _ZN9rocsparseL42csr2bsr_nnz_block_per_row_multipass_kernelILj256ELj64EliEEvT2_S1_S1_S1_S1_21rocsparse_index_base_PKT1_PKS1_S2_PS3_.private_seg_size, 0
	.set _ZN9rocsparseL42csr2bsr_nnz_block_per_row_multipass_kernelILj256ELj64EliEEvT2_S1_S1_S1_S1_21rocsparse_index_base_PKT1_PKS1_S2_PS3_.uses_vcc, 1
	.set _ZN9rocsparseL42csr2bsr_nnz_block_per_row_multipass_kernelILj256ELj64EliEEvT2_S1_S1_S1_S1_21rocsparse_index_base_PKT1_PKS1_S2_PS3_.uses_flat_scratch, 0
	.set _ZN9rocsparseL42csr2bsr_nnz_block_per_row_multipass_kernelILj256ELj64EliEEvT2_S1_S1_S1_S1_21rocsparse_index_base_PKT1_PKS1_S2_PS3_.has_dyn_sized_stack, 0
	.set _ZN9rocsparseL42csr2bsr_nnz_block_per_row_multipass_kernelILj256ELj64EliEEvT2_S1_S1_S1_S1_21rocsparse_index_base_PKT1_PKS1_S2_PS3_.has_recursion, 0
	.set _ZN9rocsparseL42csr2bsr_nnz_block_per_row_multipass_kernelILj256ELj64EliEEvT2_S1_S1_S1_S1_21rocsparse_index_base_PKT1_PKS1_S2_PS3_.has_indirect_call, 0
	.section	.AMDGPU.csdata,"",@progbits
; Kernel info:
; codeLenInByte = 1524
; TotalNumSgprs: 25
; NumVgprs: 25
; ScratchSize: 0
; MemoryBound: 0
; FloatMode: 240
; IeeeMode: 1
; LDSByteSize: 1032 bytes/workgroup (compile time only)
; SGPRBlocks: 0
; VGPRBlocks: 1
; NumSGPRsForWavesPerEU: 25
; NumVGPRsForWavesPerEU: 25
; NamedBarCnt: 0
; Occupancy: 16
; WaveLimiterHint : 0
; COMPUTE_PGM_RSRC2:SCRATCH_EN: 0
; COMPUTE_PGM_RSRC2:USER_SGPR: 2
; COMPUTE_PGM_RSRC2:TRAP_HANDLER: 0
; COMPUTE_PGM_RSRC2:TGID_X_EN: 1
; COMPUTE_PGM_RSRC2:TGID_Y_EN: 0
; COMPUTE_PGM_RSRC2:TGID_Z_EN: 0
; COMPUTE_PGM_RSRC2:TIDIG_COMP_CNT: 0
	.section	.text._ZN9rocsparseL25csr2bsr_nnz_65_inf_kernelILj32EliEEvT1_S1_S1_S1_S1_S1_21rocsparse_index_base_PKT0_PKS1_S2_PS3_S8_,"axG",@progbits,_ZN9rocsparseL25csr2bsr_nnz_65_inf_kernelILj32EliEEvT1_S1_S1_S1_S1_S1_21rocsparse_index_base_PKT0_PKS1_S2_PS3_S8_,comdat
	.globl	_ZN9rocsparseL25csr2bsr_nnz_65_inf_kernelILj32EliEEvT1_S1_S1_S1_S1_S1_21rocsparse_index_base_PKT0_PKS1_S2_PS3_S8_ ; -- Begin function _ZN9rocsparseL25csr2bsr_nnz_65_inf_kernelILj32EliEEvT1_S1_S1_S1_S1_S1_21rocsparse_index_base_PKT0_PKS1_S2_PS3_S8_
	.p2align	8
	.type	_ZN9rocsparseL25csr2bsr_nnz_65_inf_kernelILj32EliEEvT1_S1_S1_S1_S1_S1_21rocsparse_index_base_PKT0_PKS1_S2_PS3_S8_,@function
_ZN9rocsparseL25csr2bsr_nnz_65_inf_kernelILj32EliEEvT1_S1_S1_S1_S1_S1_21rocsparse_index_base_PKT0_PKS1_S2_PS3_S8_: ; @_ZN9rocsparseL25csr2bsr_nnz_65_inf_kernelILj32EliEEvT1_S1_S1_S1_S1_S1_21rocsparse_index_base_PKT0_PKS1_S2_PS3_S8_
; %bb.0:
	s_clause 0x1
	s_load_b128 s[4:7], s[0:1], 0x8
	s_load_b64 s[10:11], s[0:1], 0x40
	s_bfe_u32 s2, ttmp6, 0x4000c
	s_load_b32 s8, s[0:1], 0x18
	s_add_co_i32 s2, s2, 1
	s_and_b32 s3, ttmp6, 15
	s_mul_i32 s2, ttmp9, s2
	s_getreg_b32 s9, hwreg(HW_REG_IB_STS2, 6, 4)
	s_add_co_i32 s3, s3, s2
	s_cmp_eq_u32 s9, 0
	s_mov_b32 s15, 0
	s_cselect_b32 s3, ttmp9, s3
	s_wait_kmcnt 0x0
	v_mul_lo_u32 v4, s7, v0
	s_mul_i32 s2, s3, s7
	s_delay_alu instid0(SALU_CYCLE_1) | instskip(NEXT) | instid1(SALU_CYCLE_1)
	s_lshl_b32 s14, s2, 6
	s_lshl_b64 s[12:13], s[14:15], 3
	s_lshl_b32 s14, s7, 5
	s_add_nc_u64 s[16:17], s[10:11], s[12:13]
	s_cmp_gt_i32 s7, 0
	s_cselect_b32 s18, -1, 0
	s_delay_alu instid0(VALU_DEP_1) | instskip(SKIP_1) | instid1(VALU_DEP_1)
	v_ashrrev_i32_e32 v5, 31, v4
	s_cmp_lt_i32 s7, 1
	v_lshl_add_u64 v[2:3], v[4:5], 3, s[16:17]
	s_cbranch_scc1 .LBB20_5
; %bb.1:
	s_clause 0x1
	s_load_b64 s[10:11], s[0:1], 0x20
	s_load_b32 s19, s[0:1], 0x0
	v_mov_b64_e32 v[6:7], 0
	v_mov_b64_e32 v[8:9], v[2:3]
	v_mov_b32_e32 v1, v0
	s_mul_i32 s20, s6, s3
	s_mov_b32 s9, s15
	s_lshl_b64 s[12:13], s[14:15], 3
	s_mov_b32 s21, s7
	s_branch .LBB20_3
.LBB20_2:                               ;   in Loop: Header=BB20_3 Depth=1
	s_wait_xcnt 0x0
	s_or_b32 exec_lo, exec_lo, s2
	v_add_nc_u64_e32 v[8:9], 8, v[8:9]
	v_add_nc_u32_e32 v1, 32, v1
	s_add_co_i32 s21, s21, -1
	s_delay_alu instid0(SALU_CYCLE_1)
	s_cmp_eq_u32 s21, 0
	s_cbranch_scc1 .LBB20_5
.LBB20_3:                               ; =>This Inner Loop Header: Depth=1
	s_delay_alu instid0(VALU_DEP_1) | instskip(NEXT) | instid1(VALU_DEP_3)
	v_add_nc_u32_e32 v12, s20, v1
	v_add_nc_u64_e32 v[10:11], s[12:13], v[8:9]
	v_cmp_gt_u32_e64 s2, s6, v1
	global_store_b64 v[8:9], v[6:7], off
	s_wait_kmcnt 0x0
	v_cmp_gt_i32_e32 vcc_lo, s19, v12
	global_store_b64 v[10:11], v[6:7], off
	s_and_b32 s22, s2, vcc_lo
	s_wait_xcnt 0x0
	s_and_saveexec_b32 s2, s22
	s_cbranch_execz .LBB20_2
; %bb.4:                                ;   in Loop: Header=BB20_3 Depth=1
	v_ashrrev_i32_e32 v13, 31, v12
	s_delay_alu instid0(VALU_DEP_1)
	v_lshl_add_u64 v[12:13], v[12:13], 3, s[10:11]
	global_load_b128 v[12:15], v[12:13], off
	s_wait_loadcnt 0x0
	v_sub_nc_u64_e64 v[12:13], v[12:13], s[8:9]
	v_sub_nc_u64_e64 v[14:15], v[14:15], s[8:9]
	s_clause 0x1
	global_store_b64 v[8:9], v[12:13], off
	global_store_b64 v[10:11], v[14:15], off
	s_branch .LBB20_2
.LBB20_5:
	s_load_b64 s[10:11], s[0:1], 0x38
	v_cmp_eq_u32_e64 s2, 31, v0
	s_cmp_lt_i32 s5, 1
	s_cbranch_scc1 .LBB20_20
; %bb.6:
	v_mbcnt_lo_u32_b32 v8, -1, 0
	s_lshl_b64 s[20:21], s[14:15], 3
	s_abs_i32 s9, s6
	s_add_nc_u64 s[16:17], s[16:17], s[20:21]
	s_cvt_f32_u32 s14, s9
	v_xor_b32_e32 v9, 8, v8
	v_xor_b32_e32 v1, 16, v8
	v_lshl_add_u64 v[6:7], v[4:5], 3, s[16:17]
	v_rcp_iflag_f32_e32 v5, s14
	v_xor_b32_e32 v11, 1, v8
	v_xor_b32_e32 v10, 2, v8
	v_cmp_gt_i32_e32 vcc_lo, 32, v1
	s_load_b64 s[12:13], s[0:1], 0x28
	s_sub_co_i32 s16, 0, s9
	v_dual_mov_b32 v24, 0 :: v_dual_bitop2_b32 v4, 4, v8 bitop3:0x14
	v_cndmask_b32_e32 v1, v8, v1, vcc_lo
	v_readfirstlane_b32 s14, v5
	s_mov_b32 s15, 0
	s_ashr_i32 s6, s6, 31
	s_mov_b32 s17, s15
	v_lshlrev_b32_e32 v1, 2, v1
	v_cmp_gt_i32_e32 vcc_lo, 32, v9
	s_mul_f32 s14, s14, 0x4f7ffffe
	s_mov_b32 s19, 0
	v_mov_b32_e32 v23, 0x7c
	v_cndmask_b32_e32 v9, v8, v9, vcc_lo
	v_cmp_gt_i32_e32 vcc_lo, 32, v4
	s_cvt_u32_f32 s14, s14
	s_delay_alu instid0(VALU_DEP_2) | instskip(SKIP_1) | instid1(SALU_CYCLE_1)
	v_dual_cndmask_b32 v4, v8, v4 :: v_dual_lshlrev_b32 v5, 2, v9
	v_cmp_gt_i32_e32 vcc_lo, 32, v10
	s_mul_i32 s16, s16, s14
	v_mov_b32_e32 v9, 0
	s_mul_hi_u32 s16, s14, s16
	v_cndmask_b32_e32 v10, v8, v10, vcc_lo
	v_cmp_gt_i32_e32 vcc_lo, 32, v11
	v_dual_lshlrev_b32 v20, 2, v4 :: v_dual_mov_b32 v4, 0
	s_add_co_i32 s16, s14, s16
	s_delay_alu instid0(VALU_DEP_3) | instskip(NEXT) | instid1(VALU_DEP_1)
	v_dual_cndmask_b32 v8, v8, v11 :: v_dual_lshlrev_b32 v21, 2, v10
	v_lshlrev_b32_e32 v22, 2, v8
	s_branch .LBB20_8
.LBB20_7:                               ;   in Loop: Header=BB20_8 Depth=1
	ds_bpermute_b32 v8, v1, v25
	s_wait_dscnt 0x0
	v_min_i32_e32 v8, v8, v25
	ds_bpermute_b32 v10, v5, v8
	s_wait_dscnt 0x0
	v_min_i32_e32 v8, v10, v8
	ds_bpermute_b32 v10, v20, v8
	s_wait_dscnt 0x0
	v_min_i32_e32 v8, v10, v8
	ds_bpermute_b32 v10, v21, v8
	s_wait_dscnt 0x0
	v_min_i32_e32 v8, v10, v8
	ds_bpermute_b32 v10, v22, v8
	s_wait_dscnt 0x0
	v_min_i32_e32 v8, v10, v8
	ds_bpermute_b32 v8, v23, v8
	s_wait_dscnt 0x0
	v_cmp_gt_i32_e32 vcc_lo, s5, v8
	v_add_nc_u32_e32 v24, 1, v8
	s_and_b32 s14, s2, vcc_lo
	s_delay_alu instid0(SALU_CYCLE_1) | instskip(NEXT) | instid1(VALU_DEP_1)
	v_cndmask_b32_e64 v8, 0, 1, s14
	v_add_nc_u32_e32 v4, v4, v8
	s_delay_alu instid0(VALU_DEP_3) | instskip(SKIP_1) | instid1(SALU_CYCLE_1)
	v_cmp_le_i32_e32 vcc_lo, s5, v24
	s_or_b32 s19, vcc_lo, s19
	s_and_not1_b32 exec_lo, exec_lo, s19
	s_cbranch_execz .LBB20_19
.LBB20_8:                               ; =>This Loop Header: Depth=1
                                        ;     Child Loop BB20_12 Depth 2
                                        ;       Child Loop BB20_15 Depth 3
	v_mov_b32_e32 v25, s5
	s_and_not1_b32 vcc_lo, exec_lo, s18
	s_cbranch_vccnz .LBB20_7
; %bb.9:                                ;   in Loop: Header=BB20_8 Depth=1
	v_mov_b32_e32 v25, s5
	s_mov_b32 s14, 0
	s_branch .LBB20_12
.LBB20_10:                              ;   in Loop: Header=BB20_12 Depth=2
	s_wait_xcnt 0x0
	s_or_b32 exec_lo, exec_lo, s21
.LBB20_11:                              ;   in Loop: Header=BB20_12 Depth=2
	s_delay_alu instid0(SALU_CYCLE_1) | instskip(SKIP_1) | instid1(SALU_CYCLE_1)
	s_or_b32 exec_lo, exec_lo, s20
	s_add_co_i32 s14, s14, 1
	s_cmp_eq_u32 s14, s7
	s_cbranch_scc1 .LBB20_7
.LBB20_12:                              ;   Parent Loop BB20_8 Depth=1
                                        ; =>  This Loop Header: Depth=2
                                        ;       Child Loop BB20_15 Depth 3
	s_lshl_b64 s[20:21], s[14:15], 3
	s_delay_alu instid0(SALU_CYCLE_1)
	v_add_nc_u64_e32 v[10:11], s[20:21], v[2:3]
	v_add_nc_u64_e32 v[16:17], s[20:21], v[6:7]
	s_mov_b32 s20, exec_lo
	s_clause 0x1
	global_load_b64 v[14:15], v[10:11], off
	global_load_b64 v[12:13], v[16:17], off
	s_wait_loadcnt 0x0
	v_cmpx_lt_i64_e64 v[14:15], v[12:13]
	s_cbranch_execz .LBB20_11
; %bb.13:                               ;   in Loop: Header=BB20_12 Depth=2
	s_wait_kmcnt 0x0
	v_lshl_add_u64 v[16:17], v[14:15], 2, s[12:13]
	s_mov_b32 s21, 0
                                        ; implicit-def: $sgpr22
                                        ; implicit-def: $sgpr24
                                        ; implicit-def: $sgpr23
	s_branch .LBB20_15
.LBB20_14:                              ;   in Loop: Header=BB20_15 Depth=3
	s_or_b32 exec_lo, exec_lo, s25
	s_delay_alu instid0(SALU_CYCLE_1) | instskip(NEXT) | instid1(SALU_CYCLE_1)
	s_and_b32 s25, exec_lo, s24
	s_or_b32 s21, s25, s21
	s_and_not1_b32 s22, s22, exec_lo
	s_and_b32 s25, s23, exec_lo
	s_delay_alu instid0(SALU_CYCLE_1)
	s_or_b32 s22, s22, s25
	s_and_not1_b32 exec_lo, exec_lo, s21
	s_cbranch_execz .LBB20_17
.LBB20_15:                              ;   Parent Loop BB20_8 Depth=1
                                        ;     Parent Loop BB20_12 Depth=2
                                        ; =>    This Inner Loop Header: Depth=3
	global_load_b32 v8, v[16:17], off
	s_or_b32 s23, s23, exec_lo
	s_or_b32 s24, s24, exec_lo
	s_mov_b32 s25, exec_lo
	s_wait_loadcnt 0x0
	v_subrev_nc_u32_e32 v26, s8, v8
	s_delay_alu instid0(VALU_DEP_1) | instskip(NEXT) | instid1(VALU_DEP_1)
	v_sub_nc_u32_e32 v8, 0, v26
	v_max_i32_e32 v8, v26, v8
	s_delay_alu instid0(VALU_DEP_1) | instskip(NEXT) | instid1(VALU_DEP_1)
	v_mul_u64_e32 v[18:19], s[16:17], v[8:9]
	v_mul_lo_u32 v18, v19, s9
	s_delay_alu instid0(VALU_DEP_1) | instskip(NEXT) | instid1(VALU_DEP_1)
	v_dual_sub_nc_u32 v8, v8, v18 :: v_dual_add_nc_u32 v18, 1, v19
	v_cmp_le_u32_e32 vcc_lo, s9, v8
	s_delay_alu instid0(VALU_DEP_2) | instskip(SKIP_1) | instid1(VALU_DEP_2)
	v_cndmask_b32_e32 v18, v19, v18, vcc_lo
	v_ashrrev_i32_e32 v19, 31, v26
	v_add_nc_u32_e32 v26, 1, v18
	v_subrev_nc_u32_e32 v27, s9, v8
	s_delay_alu instid0(VALU_DEP_1) | instskip(NEXT) | instid1(VALU_DEP_1)
	v_cndmask_b32_e32 v8, v8, v27, vcc_lo
	v_cmp_le_u32_e32 vcc_lo, s9, v8
	s_delay_alu instid0(VALU_DEP_4) | instskip(NEXT) | instid1(VALU_DEP_1)
	v_dual_cndmask_b32 v8, v18, v26, vcc_lo :: v_dual_bitop2_b32 v19, s6, v19 bitop3:0x14
	v_xor_b32_e32 v8, v8, v19
	s_delay_alu instid0(VALU_DEP_1) | instskip(SKIP_2) | instid1(VALU_DEP_2)
	v_sub_nc_u32_e32 v8, v8, v19
	v_mov_b64_e32 v[18:19], v[14:15]
                                        ; implicit-def: $vgpr14_vgpr15
	s_wait_xcnt 0x0
	v_cmpx_lt_i32_e64 v8, v24
	s_cbranch_execz .LBB20_14
; %bb.16:                               ;   in Loop: Header=BB20_15 Depth=3
	s_delay_alu instid0(VALU_DEP_2) | instskip(SKIP_3) | instid1(VALU_DEP_2)
	v_add_nc_u64_e32 v[14:15], 1, v[18:19]
	v_add_nc_u64_e32 v[16:17], 4, v[16:17]
	s_and_not1_b32 s24, s24, exec_lo
	s_and_not1_b32 s23, s23, exec_lo
	v_cmp_ge_i64_e32 vcc_lo, v[14:15], v[12:13]
	s_and_b32 s26, vcc_lo, exec_lo
	s_delay_alu instid0(SALU_CYCLE_1)
	s_or_b32 s24, s24, s26
	s_branch .LBB20_14
.LBB20_17:                              ;   in Loop: Header=BB20_12 Depth=2
	s_or_b32 exec_lo, exec_lo, s21
	s_and_saveexec_b32 s21, s22
	s_delay_alu instid0(SALU_CYCLE_1)
	s_xor_b32 s21, exec_lo, s21
	s_cbranch_execz .LBB20_10
; %bb.18:                               ;   in Loop: Header=BB20_12 Depth=2
	v_min_i32_e32 v25, v8, v25
	global_store_b64 v[10:11], v[18:19], off
	s_branch .LBB20_10
.LBB20_19:
	s_or_b32 exec_lo, exec_lo, s19
	v_mov_b32_e32 v5, 0
	s_branch .LBB20_21
.LBB20_20:
	v_mov_b64_e32 v[4:5], 0
.LBB20_21:
	v_cmp_eq_u32_e32 vcc_lo, 31, v0
	s_cmp_lt_i32 s3, s4
	s_cselect_b32 s2, -1, 0
	s_delay_alu instid0(SALU_CYCLE_1) | instskip(NEXT) | instid1(SALU_CYCLE_1)
	s_and_b32 s2, vcc_lo, s2
	s_and_saveexec_b32 s4, s2
	s_cbranch_execz .LBB20_23
; %bb.22:
	s_wait_xcnt 0x0
	s_load_b32 s0, s[0:1], 0x30
	v_dual_mov_b32 v1, 0 :: v_dual_mov_b32 v2, s3
	s_wait_kmcnt 0x0
	v_mov_b32_e32 v0, s0
	s_clause 0x1
	global_store_b64 v1, v[0:1], s[10:11]
	global_store_b64 v2, v[4:5], s[10:11] offset:8 scale_offset
.LBB20_23:
	s_endpgm
	.section	.rodata,"a",@progbits
	.p2align	6, 0x0
	.amdhsa_kernel _ZN9rocsparseL25csr2bsr_nnz_65_inf_kernelILj32EliEEvT1_S1_S1_S1_S1_S1_21rocsparse_index_base_PKT0_PKS1_S2_PS3_S8_
		.amdhsa_group_segment_fixed_size 0
		.amdhsa_private_segment_fixed_size 0
		.amdhsa_kernarg_size 72
		.amdhsa_user_sgpr_count 2
		.amdhsa_user_sgpr_dispatch_ptr 0
		.amdhsa_user_sgpr_queue_ptr 0
		.amdhsa_user_sgpr_kernarg_segment_ptr 1
		.amdhsa_user_sgpr_dispatch_id 0
		.amdhsa_user_sgpr_kernarg_preload_length 0
		.amdhsa_user_sgpr_kernarg_preload_offset 0
		.amdhsa_user_sgpr_private_segment_size 0
		.amdhsa_wavefront_size32 1
		.amdhsa_uses_dynamic_stack 0
		.amdhsa_enable_private_segment 0
		.amdhsa_system_sgpr_workgroup_id_x 1
		.amdhsa_system_sgpr_workgroup_id_y 0
		.amdhsa_system_sgpr_workgroup_id_z 0
		.amdhsa_system_sgpr_workgroup_info 0
		.amdhsa_system_vgpr_workitem_id 0
		.amdhsa_next_free_vgpr 28
		.amdhsa_next_free_sgpr 27
		.amdhsa_named_barrier_count 0
		.amdhsa_reserve_vcc 1
		.amdhsa_float_round_mode_32 0
		.amdhsa_float_round_mode_16_64 0
		.amdhsa_float_denorm_mode_32 3
		.amdhsa_float_denorm_mode_16_64 3
		.amdhsa_fp16_overflow 0
		.amdhsa_memory_ordered 1
		.amdhsa_forward_progress 1
		.amdhsa_inst_pref_size 10
		.amdhsa_round_robin_scheduling 0
		.amdhsa_exception_fp_ieee_invalid_op 0
		.amdhsa_exception_fp_denorm_src 0
		.amdhsa_exception_fp_ieee_div_zero 0
		.amdhsa_exception_fp_ieee_overflow 0
		.amdhsa_exception_fp_ieee_underflow 0
		.amdhsa_exception_fp_ieee_inexact 0
		.amdhsa_exception_int_div_zero 0
	.end_amdhsa_kernel
	.section	.text._ZN9rocsparseL25csr2bsr_nnz_65_inf_kernelILj32EliEEvT1_S1_S1_S1_S1_S1_21rocsparse_index_base_PKT0_PKS1_S2_PS3_S8_,"axG",@progbits,_ZN9rocsparseL25csr2bsr_nnz_65_inf_kernelILj32EliEEvT1_S1_S1_S1_S1_S1_21rocsparse_index_base_PKT0_PKS1_S2_PS3_S8_,comdat
.Lfunc_end20:
	.size	_ZN9rocsparseL25csr2bsr_nnz_65_inf_kernelILj32EliEEvT1_S1_S1_S1_S1_S1_21rocsparse_index_base_PKT0_PKS1_S2_PS3_S8_, .Lfunc_end20-_ZN9rocsparseL25csr2bsr_nnz_65_inf_kernelILj32EliEEvT1_S1_S1_S1_S1_S1_21rocsparse_index_base_PKT0_PKS1_S2_PS3_S8_
                                        ; -- End function
	.set _ZN9rocsparseL25csr2bsr_nnz_65_inf_kernelILj32EliEEvT1_S1_S1_S1_S1_S1_21rocsparse_index_base_PKT0_PKS1_S2_PS3_S8_.num_vgpr, 28
	.set _ZN9rocsparseL25csr2bsr_nnz_65_inf_kernelILj32EliEEvT1_S1_S1_S1_S1_S1_21rocsparse_index_base_PKT0_PKS1_S2_PS3_S8_.num_agpr, 0
	.set _ZN9rocsparseL25csr2bsr_nnz_65_inf_kernelILj32EliEEvT1_S1_S1_S1_S1_S1_21rocsparse_index_base_PKT0_PKS1_S2_PS3_S8_.numbered_sgpr, 27
	.set _ZN9rocsparseL25csr2bsr_nnz_65_inf_kernelILj32EliEEvT1_S1_S1_S1_S1_S1_21rocsparse_index_base_PKT0_PKS1_S2_PS3_S8_.num_named_barrier, 0
	.set _ZN9rocsparseL25csr2bsr_nnz_65_inf_kernelILj32EliEEvT1_S1_S1_S1_S1_S1_21rocsparse_index_base_PKT0_PKS1_S2_PS3_S8_.private_seg_size, 0
	.set _ZN9rocsparseL25csr2bsr_nnz_65_inf_kernelILj32EliEEvT1_S1_S1_S1_S1_S1_21rocsparse_index_base_PKT0_PKS1_S2_PS3_S8_.uses_vcc, 1
	.set _ZN9rocsparseL25csr2bsr_nnz_65_inf_kernelILj32EliEEvT1_S1_S1_S1_S1_S1_21rocsparse_index_base_PKT0_PKS1_S2_PS3_S8_.uses_flat_scratch, 0
	.set _ZN9rocsparseL25csr2bsr_nnz_65_inf_kernelILj32EliEEvT1_S1_S1_S1_S1_S1_21rocsparse_index_base_PKT0_PKS1_S2_PS3_S8_.has_dyn_sized_stack, 0
	.set _ZN9rocsparseL25csr2bsr_nnz_65_inf_kernelILj32EliEEvT1_S1_S1_S1_S1_S1_21rocsparse_index_base_PKT0_PKS1_S2_PS3_S8_.has_recursion, 0
	.set _ZN9rocsparseL25csr2bsr_nnz_65_inf_kernelILj32EliEEvT1_S1_S1_S1_S1_S1_21rocsparse_index_base_PKT0_PKS1_S2_PS3_S8_.has_indirect_call, 0
	.section	.AMDGPU.csdata,"",@progbits
; Kernel info:
; codeLenInByte = 1264
; TotalNumSgprs: 29
; NumVgprs: 28
; ScratchSize: 0
; MemoryBound: 0
; FloatMode: 240
; IeeeMode: 1
; LDSByteSize: 0 bytes/workgroup (compile time only)
; SGPRBlocks: 0
; VGPRBlocks: 1
; NumSGPRsForWavesPerEU: 29
; NumVGPRsForWavesPerEU: 28
; NamedBarCnt: 0
; Occupancy: 16
; WaveLimiterHint : 0
; COMPUTE_PGM_RSRC2:SCRATCH_EN: 0
; COMPUTE_PGM_RSRC2:USER_SGPR: 2
; COMPUTE_PGM_RSRC2:TRAP_HANDLER: 0
; COMPUTE_PGM_RSRC2:TGID_X_EN: 1
; COMPUTE_PGM_RSRC2:TGID_Y_EN: 0
; COMPUTE_PGM_RSRC2:TGID_Z_EN: 0
; COMPUTE_PGM_RSRC2:TIDIG_COMP_CNT: 0
	.section	.text._ZN9rocsparseL36csr2bsr_nnz_compute_nnz_total_kernelILj1EliEEvT1_PKT0_PS2_,"axG",@progbits,_ZN9rocsparseL36csr2bsr_nnz_compute_nnz_total_kernelILj1EliEEvT1_PKT0_PS2_,comdat
	.globl	_ZN9rocsparseL36csr2bsr_nnz_compute_nnz_total_kernelILj1EliEEvT1_PKT0_PS2_ ; -- Begin function _ZN9rocsparseL36csr2bsr_nnz_compute_nnz_total_kernelILj1EliEEvT1_PKT0_PS2_
	.p2align	8
	.type	_ZN9rocsparseL36csr2bsr_nnz_compute_nnz_total_kernelILj1EliEEvT1_PKT0_PS2_,@function
_ZN9rocsparseL36csr2bsr_nnz_compute_nnz_total_kernelILj1EliEEvT1_PKT0_PS2_: ; @_ZN9rocsparseL36csr2bsr_nnz_compute_nnz_total_kernelILj1EliEEvT1_PKT0_PS2_
; %bb.0:
	s_bfe_u32 s2, ttmp6, 0x4000c
	s_and_b32 s3, ttmp6, 15
	s_add_co_i32 s2, s2, 1
	s_getreg_b32 s4, hwreg(HW_REG_IB_STS2, 6, 4)
	s_mul_i32 s2, ttmp9, s2
	s_delay_alu instid0(SALU_CYCLE_1) | instskip(SKIP_2) | instid1(SALU_CYCLE_1)
	s_add_co_i32 s3, s3, s2
	s_cmp_eq_u32 s4, 0
	s_cselect_b32 s2, ttmp9, s3
	s_sub_co_i32 s2, 0, s2
	s_delay_alu instid0(SALU_CYCLE_1)
	s_cmp_lg_u32 0, s2
	s_cbranch_scc1 .LBB21_2
; %bb.1:
	s_clause 0x1
	s_load_b32 s2, s[0:1], 0x0
	s_load_b128 s[4:7], s[0:1], 0x8
	v_mov_b32_e32 v2, 0
	s_wait_kmcnt 0x0
	s_ashr_i32 s3, s2, 31
	s_delay_alu instid0(SALU_CYCLE_1) | instskip(NEXT) | instid1(SALU_CYCLE_1)
	s_lshl_b64 s[0:1], s[2:3], 3
	s_add_nc_u64 s[0:1], s[4:5], s[0:1]
	s_clause 0x1
	s_load_b64 s[2:3], s[0:1], 0x0
	s_load_b64 s[8:9], s[4:5], 0x0
	s_wait_kmcnt 0x0
	s_sub_nc_u64 s[0:1], s[2:3], s[8:9]
	s_delay_alu instid0(SALU_CYCLE_1)
	v_mov_b64_e32 v[0:1], s[0:1]
	global_store_b64 v2, v[0:1], s[6:7]
.LBB21_2:
	s_endpgm
	.section	.rodata,"a",@progbits
	.p2align	6, 0x0
	.amdhsa_kernel _ZN9rocsparseL36csr2bsr_nnz_compute_nnz_total_kernelILj1EliEEvT1_PKT0_PS2_
		.amdhsa_group_segment_fixed_size 0
		.amdhsa_private_segment_fixed_size 0
		.amdhsa_kernarg_size 24
		.amdhsa_user_sgpr_count 2
		.amdhsa_user_sgpr_dispatch_ptr 0
		.amdhsa_user_sgpr_queue_ptr 0
		.amdhsa_user_sgpr_kernarg_segment_ptr 1
		.amdhsa_user_sgpr_dispatch_id 0
		.amdhsa_user_sgpr_kernarg_preload_length 0
		.amdhsa_user_sgpr_kernarg_preload_offset 0
		.amdhsa_user_sgpr_private_segment_size 0
		.amdhsa_wavefront_size32 1
		.amdhsa_uses_dynamic_stack 0
		.amdhsa_enable_private_segment 0
		.amdhsa_system_sgpr_workgroup_id_x 1
		.amdhsa_system_sgpr_workgroup_id_y 0
		.amdhsa_system_sgpr_workgroup_id_z 0
		.amdhsa_system_sgpr_workgroup_info 0
		.amdhsa_system_vgpr_workitem_id 0
		.amdhsa_next_free_vgpr 3
		.amdhsa_next_free_sgpr 10
		.amdhsa_named_barrier_count 0
		.amdhsa_reserve_vcc 0
		.amdhsa_float_round_mode_32 0
		.amdhsa_float_round_mode_16_64 0
		.amdhsa_float_denorm_mode_32 3
		.amdhsa_float_denorm_mode_16_64 3
		.amdhsa_fp16_overflow 0
		.amdhsa_memory_ordered 1
		.amdhsa_forward_progress 1
		.amdhsa_inst_pref_size 2
		.amdhsa_round_robin_scheduling 0
		.amdhsa_exception_fp_ieee_invalid_op 0
		.amdhsa_exception_fp_denorm_src 0
		.amdhsa_exception_fp_ieee_div_zero 0
		.amdhsa_exception_fp_ieee_overflow 0
		.amdhsa_exception_fp_ieee_underflow 0
		.amdhsa_exception_fp_ieee_inexact 0
		.amdhsa_exception_int_div_zero 0
	.end_amdhsa_kernel
	.section	.text._ZN9rocsparseL36csr2bsr_nnz_compute_nnz_total_kernelILj1EliEEvT1_PKT0_PS2_,"axG",@progbits,_ZN9rocsparseL36csr2bsr_nnz_compute_nnz_total_kernelILj1EliEEvT1_PKT0_PS2_,comdat
.Lfunc_end21:
	.size	_ZN9rocsparseL36csr2bsr_nnz_compute_nnz_total_kernelILj1EliEEvT1_PKT0_PS2_, .Lfunc_end21-_ZN9rocsparseL36csr2bsr_nnz_compute_nnz_total_kernelILj1EliEEvT1_PKT0_PS2_
                                        ; -- End function
	.set _ZN9rocsparseL36csr2bsr_nnz_compute_nnz_total_kernelILj1EliEEvT1_PKT0_PS2_.num_vgpr, 3
	.set _ZN9rocsparseL36csr2bsr_nnz_compute_nnz_total_kernelILj1EliEEvT1_PKT0_PS2_.num_agpr, 0
	.set _ZN9rocsparseL36csr2bsr_nnz_compute_nnz_total_kernelILj1EliEEvT1_PKT0_PS2_.numbered_sgpr, 10
	.set _ZN9rocsparseL36csr2bsr_nnz_compute_nnz_total_kernelILj1EliEEvT1_PKT0_PS2_.num_named_barrier, 0
	.set _ZN9rocsparseL36csr2bsr_nnz_compute_nnz_total_kernelILj1EliEEvT1_PKT0_PS2_.private_seg_size, 0
	.set _ZN9rocsparseL36csr2bsr_nnz_compute_nnz_total_kernelILj1EliEEvT1_PKT0_PS2_.uses_vcc, 0
	.set _ZN9rocsparseL36csr2bsr_nnz_compute_nnz_total_kernelILj1EliEEvT1_PKT0_PS2_.uses_flat_scratch, 0
	.set _ZN9rocsparseL36csr2bsr_nnz_compute_nnz_total_kernelILj1EliEEvT1_PKT0_PS2_.has_dyn_sized_stack, 0
	.set _ZN9rocsparseL36csr2bsr_nnz_compute_nnz_total_kernelILj1EliEEvT1_PKT0_PS2_.has_recursion, 0
	.set _ZN9rocsparseL36csr2bsr_nnz_compute_nnz_total_kernelILj1EliEEvT1_PKT0_PS2_.has_indirect_call, 0
	.section	.AMDGPU.csdata,"",@progbits
; Kernel info:
; codeLenInByte = 152
; TotalNumSgprs: 10
; NumVgprs: 3
; ScratchSize: 0
; MemoryBound: 0
; FloatMode: 240
; IeeeMode: 1
; LDSByteSize: 0 bytes/workgroup (compile time only)
; SGPRBlocks: 0
; VGPRBlocks: 0
; NumSGPRsForWavesPerEU: 10
; NumVGPRsForWavesPerEU: 3
; NamedBarCnt: 0
; Occupancy: 16
; WaveLimiterHint : 0
; COMPUTE_PGM_RSRC2:SCRATCH_EN: 0
; COMPUTE_PGM_RSRC2:USER_SGPR: 2
; COMPUTE_PGM_RSRC2:TRAP_HANDLER: 0
; COMPUTE_PGM_RSRC2:TGID_X_EN: 1
; COMPUTE_PGM_RSRC2:TGID_Y_EN: 0
; COMPUTE_PGM_RSRC2:TGID_Z_EN: 0
; COMPUTE_PGM_RSRC2:TIDIG_COMP_CNT: 0
	.section	.text._ZN9rocsparseL39csr2bsr_nnz_block_dim_equals_one_kernelILj256EilEEvT1_21rocsparse_index_base_PKT0_S2_PS3_S6_,"axG",@progbits,_ZN9rocsparseL39csr2bsr_nnz_block_dim_equals_one_kernelILj256EilEEvT1_21rocsparse_index_base_PKT0_S2_PS3_S6_,comdat
	.globl	_ZN9rocsparseL39csr2bsr_nnz_block_dim_equals_one_kernelILj256EilEEvT1_21rocsparse_index_base_PKT0_S2_PS3_S6_ ; -- Begin function _ZN9rocsparseL39csr2bsr_nnz_block_dim_equals_one_kernelILj256EilEEvT1_21rocsparse_index_base_PKT0_S2_PS3_S6_
	.p2align	8
	.type	_ZN9rocsparseL39csr2bsr_nnz_block_dim_equals_one_kernelILj256EilEEvT1_21rocsparse_index_base_PKT0_S2_PS3_S6_,@function
_ZN9rocsparseL39csr2bsr_nnz_block_dim_equals_one_kernelILj256EilEEvT1_21rocsparse_index_base_PKT0_S2_PS3_S6_: ; @_ZN9rocsparseL39csr2bsr_nnz_block_dim_equals_one_kernelILj256EilEEvT1_21rocsparse_index_base_PKT0_S2_PS3_S6_
; %bb.0:
	s_load_b32 s4, s[0:1], 0x3c
	s_bfe_u32 s6, ttmp6, 0x4000c
	s_and_b32 s5, ttmp6, 15
	s_add_co_i32 s6, s6, 1
	s_load_b64 s[2:3], s[0:1], 0x0
	s_mul_i32 s6, ttmp9, s6
	s_getreg_b32 s7, hwreg(HW_REG_IB_STS2, 6, 4)
	s_add_co_i32 s6, s5, s6
	v_mov_b32_e32 v1, 0
	s_wait_kmcnt 0x0
	s_and_b32 s8, s4, 0xffff
	s_load_b64 s[4:5], s[0:1], 0x10
	s_cmp_eq_u32 s7, 0
	s_cselect_b32 s6, ttmp9, s6
	s_delay_alu instid0(SALU_CYCLE_1) | instskip(SKIP_1) | instid1(VALU_DEP_1)
	v_mad_u32 v0, s6, s8, v0
	s_mov_b32 s6, exec_lo
	v_cmpx_ge_i64_e64 s[2:3], v[0:1]
	s_cbranch_execz .LBB22_2
; %bb.1:
	v_lshlrev_b64_e32 v[2:3], 2, v[0:1]
	s_wait_kmcnt 0x0
	s_delay_alu instid0(VALU_DEP_1)
	v_add_nc_u64_e32 v[4:5], s[4:5], v[2:3]
	global_load_b32 v1, v[4:5], off
	s_clause 0x2
	s_load_b64 s[8:9], s[0:1], 0x20
	s_load_b32 s7, s[0:1], 0x8
	s_load_b32 s10, s[0:1], 0x18
	s_wait_kmcnt 0x0
	v_add_nc_u64_e32 v[2:3], s[8:9], v[2:3]
	s_sub_co_i32 s7, s10, s7
	s_wait_loadcnt 0x0
	v_add_nc_u32_e32 v1, s7, v1
	global_store_b32 v[2:3], v1, off
.LBB22_2:
	s_wait_xcnt 0x0
	s_or_b32 exec_lo, exec_lo, s6
	s_delay_alu instid0(SALU_CYCLE_1)
	s_mov_b32 s6, exec_lo
	v_cmpx_eq_u32_e32 0, v0
	s_cbranch_execz .LBB22_4
; %bb.3:
	s_lshl_b64 s[2:3], s[2:3], 2
	s_wait_kmcnt 0x0
	s_add_nc_u64 s[2:3], s[4:5], s[2:3]
	s_clause 0x1
	s_load_b32 s8, s[2:3], 0x0
	s_load_b32 s9, s[4:5], 0x0
	s_load_b64 s[6:7], s[0:1], 0x28
	s_wait_kmcnt 0x0
	s_sub_co_i32 s0, s8, s9
	s_delay_alu instid0(SALU_CYCLE_1)
	v_dual_mov_b32 v0, 0 :: v_dual_mov_b32 v1, s0
	global_store_b32 v0, v1, s[6:7]
.LBB22_4:
	s_endpgm
	.section	.rodata,"a",@progbits
	.p2align	6, 0x0
	.amdhsa_kernel _ZN9rocsparseL39csr2bsr_nnz_block_dim_equals_one_kernelILj256EilEEvT1_21rocsparse_index_base_PKT0_S2_PS3_S6_
		.amdhsa_group_segment_fixed_size 0
		.amdhsa_private_segment_fixed_size 0
		.amdhsa_kernarg_size 304
		.amdhsa_user_sgpr_count 2
		.amdhsa_user_sgpr_dispatch_ptr 0
		.amdhsa_user_sgpr_queue_ptr 0
		.amdhsa_user_sgpr_kernarg_segment_ptr 1
		.amdhsa_user_sgpr_dispatch_id 0
		.amdhsa_user_sgpr_kernarg_preload_length 0
		.amdhsa_user_sgpr_kernarg_preload_offset 0
		.amdhsa_user_sgpr_private_segment_size 0
		.amdhsa_wavefront_size32 1
		.amdhsa_uses_dynamic_stack 0
		.amdhsa_enable_private_segment 0
		.amdhsa_system_sgpr_workgroup_id_x 1
		.amdhsa_system_sgpr_workgroup_id_y 0
		.amdhsa_system_sgpr_workgroup_id_z 0
		.amdhsa_system_sgpr_workgroup_info 0
		.amdhsa_system_vgpr_workitem_id 0
		.amdhsa_next_free_vgpr 6
		.amdhsa_next_free_sgpr 11
		.amdhsa_named_barrier_count 0
		.amdhsa_reserve_vcc 0
		.amdhsa_float_round_mode_32 0
		.amdhsa_float_round_mode_16_64 0
		.amdhsa_float_denorm_mode_32 3
		.amdhsa_float_denorm_mode_16_64 3
		.amdhsa_fp16_overflow 0
		.amdhsa_memory_ordered 1
		.amdhsa_forward_progress 1
		.amdhsa_inst_pref_size 3
		.amdhsa_round_robin_scheduling 0
		.amdhsa_exception_fp_ieee_invalid_op 0
		.amdhsa_exception_fp_denorm_src 0
		.amdhsa_exception_fp_ieee_div_zero 0
		.amdhsa_exception_fp_ieee_overflow 0
		.amdhsa_exception_fp_ieee_underflow 0
		.amdhsa_exception_fp_ieee_inexact 0
		.amdhsa_exception_int_div_zero 0
	.end_amdhsa_kernel
	.section	.text._ZN9rocsparseL39csr2bsr_nnz_block_dim_equals_one_kernelILj256EilEEvT1_21rocsparse_index_base_PKT0_S2_PS3_S6_,"axG",@progbits,_ZN9rocsparseL39csr2bsr_nnz_block_dim_equals_one_kernelILj256EilEEvT1_21rocsparse_index_base_PKT0_S2_PS3_S6_,comdat
.Lfunc_end22:
	.size	_ZN9rocsparseL39csr2bsr_nnz_block_dim_equals_one_kernelILj256EilEEvT1_21rocsparse_index_base_PKT0_S2_PS3_S6_, .Lfunc_end22-_ZN9rocsparseL39csr2bsr_nnz_block_dim_equals_one_kernelILj256EilEEvT1_21rocsparse_index_base_PKT0_S2_PS3_S6_
                                        ; -- End function
	.set _ZN9rocsparseL39csr2bsr_nnz_block_dim_equals_one_kernelILj256EilEEvT1_21rocsparse_index_base_PKT0_S2_PS3_S6_.num_vgpr, 6
	.set _ZN9rocsparseL39csr2bsr_nnz_block_dim_equals_one_kernelILj256EilEEvT1_21rocsparse_index_base_PKT0_S2_PS3_S6_.num_agpr, 0
	.set _ZN9rocsparseL39csr2bsr_nnz_block_dim_equals_one_kernelILj256EilEEvT1_21rocsparse_index_base_PKT0_S2_PS3_S6_.numbered_sgpr, 11
	.set _ZN9rocsparseL39csr2bsr_nnz_block_dim_equals_one_kernelILj256EilEEvT1_21rocsparse_index_base_PKT0_S2_PS3_S6_.num_named_barrier, 0
	.set _ZN9rocsparseL39csr2bsr_nnz_block_dim_equals_one_kernelILj256EilEEvT1_21rocsparse_index_base_PKT0_S2_PS3_S6_.private_seg_size, 0
	.set _ZN9rocsparseL39csr2bsr_nnz_block_dim_equals_one_kernelILj256EilEEvT1_21rocsparse_index_base_PKT0_S2_PS3_S6_.uses_vcc, 0
	.set _ZN9rocsparseL39csr2bsr_nnz_block_dim_equals_one_kernelILj256EilEEvT1_21rocsparse_index_base_PKT0_S2_PS3_S6_.uses_flat_scratch, 0
	.set _ZN9rocsparseL39csr2bsr_nnz_block_dim_equals_one_kernelILj256EilEEvT1_21rocsparse_index_base_PKT0_S2_PS3_S6_.has_dyn_sized_stack, 0
	.set _ZN9rocsparseL39csr2bsr_nnz_block_dim_equals_one_kernelILj256EilEEvT1_21rocsparse_index_base_PKT0_S2_PS3_S6_.has_recursion, 0
	.set _ZN9rocsparseL39csr2bsr_nnz_block_dim_equals_one_kernelILj256EilEEvT1_21rocsparse_index_base_PKT0_S2_PS3_S6_.has_indirect_call, 0
	.section	.AMDGPU.csdata,"",@progbits
; Kernel info:
; codeLenInByte = 292
; TotalNumSgprs: 11
; NumVgprs: 6
; ScratchSize: 0
; MemoryBound: 0
; FloatMode: 240
; IeeeMode: 1
; LDSByteSize: 0 bytes/workgroup (compile time only)
; SGPRBlocks: 0
; VGPRBlocks: 0
; NumSGPRsForWavesPerEU: 11
; NumVGPRsForWavesPerEU: 6
; NamedBarCnt: 0
; Occupancy: 16
; WaveLimiterHint : 0
; COMPUTE_PGM_RSRC2:SCRATCH_EN: 0
; COMPUTE_PGM_RSRC2:USER_SGPR: 2
; COMPUTE_PGM_RSRC2:TRAP_HANDLER: 0
; COMPUTE_PGM_RSRC2:TGID_X_EN: 1
; COMPUTE_PGM_RSRC2:TGID_Y_EN: 0
; COMPUTE_PGM_RSRC2:TGID_Z_EN: 0
; COMPUTE_PGM_RSRC2:TIDIG_COMP_CNT: 0
	.section	.text._ZN9rocsparseL39csr2bsr_nnz_block_dim_equals_one_kernelILj256EilEEvT1_21rocsparse_index_base_PKT0_S2_PS3_,"axG",@progbits,_ZN9rocsparseL39csr2bsr_nnz_block_dim_equals_one_kernelILj256EilEEvT1_21rocsparse_index_base_PKT0_S2_PS3_,comdat
	.globl	_ZN9rocsparseL39csr2bsr_nnz_block_dim_equals_one_kernelILj256EilEEvT1_21rocsparse_index_base_PKT0_S2_PS3_ ; -- Begin function _ZN9rocsparseL39csr2bsr_nnz_block_dim_equals_one_kernelILj256EilEEvT1_21rocsparse_index_base_PKT0_S2_PS3_
	.p2align	8
	.type	_ZN9rocsparseL39csr2bsr_nnz_block_dim_equals_one_kernelILj256EilEEvT1_21rocsparse_index_base_PKT0_S2_PS3_,@function
_ZN9rocsparseL39csr2bsr_nnz_block_dim_equals_one_kernelILj256EilEEvT1_21rocsparse_index_base_PKT0_S2_PS3_: ; @_ZN9rocsparseL39csr2bsr_nnz_block_dim_equals_one_kernelILj256EilEEvT1_21rocsparse_index_base_PKT0_S2_PS3_
; %bb.0:
	s_load_b64 s[2:3], s[0:1], 0x0
	s_bfe_u32 s4, ttmp6, 0x4000c
	s_and_b32 s5, ttmp6, 15
	s_add_co_i32 s4, s4, 1
	s_getreg_b32 s6, hwreg(HW_REG_IB_STS2, 6, 4)
	s_mul_i32 s4, ttmp9, s4
	v_mov_b32_e32 v1, 0
	s_add_co_i32 s5, s5, s4
	s_cmp_eq_u32 s6, 0
	s_cselect_b32 s4, ttmp9, s5
	s_delay_alu instid0(SALU_CYCLE_1) | instskip(SKIP_1) | instid1(VALU_DEP_1)
	v_lshl_or_b32 v0, s4, 8, v0
	s_wait_kmcnt 0x0
	v_cmp_ge_i64_e32 vcc_lo, s[2:3], v[0:1]
	s_and_saveexec_b32 s2, vcc_lo
	s_cbranch_execz .LBB23_2
; %bb.1:
	s_load_b96 s[4:6], s[0:1], 0x10
	v_lshlrev_b64_e32 v[0:1], 2, v[0:1]
	s_clause 0x1
	s_load_b64 s[2:3], s[0:1], 0x20
	s_load_b32 s7, s[0:1], 0x8
	s_wait_kmcnt 0x0
	s_delay_alu instid0(VALU_DEP_1)
	v_add_nc_u64_e32 v[2:3], s[4:5], v[0:1]
	v_add_nc_u64_e32 v[0:1], s[2:3], v[0:1]
	s_sub_co_i32 s0, s6, s7
	global_load_b32 v2, v[2:3], off
	s_wait_loadcnt 0x0
	v_add_nc_u32_e32 v2, s0, v2
	global_store_b32 v[0:1], v2, off
.LBB23_2:
	s_endpgm
	.section	.rodata,"a",@progbits
	.p2align	6, 0x0
	.amdhsa_kernel _ZN9rocsparseL39csr2bsr_nnz_block_dim_equals_one_kernelILj256EilEEvT1_21rocsparse_index_base_PKT0_S2_PS3_
		.amdhsa_group_segment_fixed_size 0
		.amdhsa_private_segment_fixed_size 0
		.amdhsa_kernarg_size 40
		.amdhsa_user_sgpr_count 2
		.amdhsa_user_sgpr_dispatch_ptr 0
		.amdhsa_user_sgpr_queue_ptr 0
		.amdhsa_user_sgpr_kernarg_segment_ptr 1
		.amdhsa_user_sgpr_dispatch_id 0
		.amdhsa_user_sgpr_kernarg_preload_length 0
		.amdhsa_user_sgpr_kernarg_preload_offset 0
		.amdhsa_user_sgpr_private_segment_size 0
		.amdhsa_wavefront_size32 1
		.amdhsa_uses_dynamic_stack 0
		.amdhsa_enable_private_segment 0
		.amdhsa_system_sgpr_workgroup_id_x 1
		.amdhsa_system_sgpr_workgroup_id_y 0
		.amdhsa_system_sgpr_workgroup_id_z 0
		.amdhsa_system_sgpr_workgroup_info 0
		.amdhsa_system_vgpr_workitem_id 0
		.amdhsa_next_free_vgpr 4
		.amdhsa_next_free_sgpr 8
		.amdhsa_named_barrier_count 0
		.amdhsa_reserve_vcc 1
		.amdhsa_float_round_mode_32 0
		.amdhsa_float_round_mode_16_64 0
		.amdhsa_float_denorm_mode_32 3
		.amdhsa_float_denorm_mode_16_64 3
		.amdhsa_fp16_overflow 0
		.amdhsa_memory_ordered 1
		.amdhsa_forward_progress 1
		.amdhsa_inst_pref_size 2
		.amdhsa_round_robin_scheduling 0
		.amdhsa_exception_fp_ieee_invalid_op 0
		.amdhsa_exception_fp_denorm_src 0
		.amdhsa_exception_fp_ieee_div_zero 0
		.amdhsa_exception_fp_ieee_overflow 0
		.amdhsa_exception_fp_ieee_underflow 0
		.amdhsa_exception_fp_ieee_inexact 0
		.amdhsa_exception_int_div_zero 0
	.end_amdhsa_kernel
	.section	.text._ZN9rocsparseL39csr2bsr_nnz_block_dim_equals_one_kernelILj256EilEEvT1_21rocsparse_index_base_PKT0_S2_PS3_,"axG",@progbits,_ZN9rocsparseL39csr2bsr_nnz_block_dim_equals_one_kernelILj256EilEEvT1_21rocsparse_index_base_PKT0_S2_PS3_,comdat
.Lfunc_end23:
	.size	_ZN9rocsparseL39csr2bsr_nnz_block_dim_equals_one_kernelILj256EilEEvT1_21rocsparse_index_base_PKT0_S2_PS3_, .Lfunc_end23-_ZN9rocsparseL39csr2bsr_nnz_block_dim_equals_one_kernelILj256EilEEvT1_21rocsparse_index_base_PKT0_S2_PS3_
                                        ; -- End function
	.set _ZN9rocsparseL39csr2bsr_nnz_block_dim_equals_one_kernelILj256EilEEvT1_21rocsparse_index_base_PKT0_S2_PS3_.num_vgpr, 4
	.set _ZN9rocsparseL39csr2bsr_nnz_block_dim_equals_one_kernelILj256EilEEvT1_21rocsparse_index_base_PKT0_S2_PS3_.num_agpr, 0
	.set _ZN9rocsparseL39csr2bsr_nnz_block_dim_equals_one_kernelILj256EilEEvT1_21rocsparse_index_base_PKT0_S2_PS3_.numbered_sgpr, 8
	.set _ZN9rocsparseL39csr2bsr_nnz_block_dim_equals_one_kernelILj256EilEEvT1_21rocsparse_index_base_PKT0_S2_PS3_.num_named_barrier, 0
	.set _ZN9rocsparseL39csr2bsr_nnz_block_dim_equals_one_kernelILj256EilEEvT1_21rocsparse_index_base_PKT0_S2_PS3_.private_seg_size, 0
	.set _ZN9rocsparseL39csr2bsr_nnz_block_dim_equals_one_kernelILj256EilEEvT1_21rocsparse_index_base_PKT0_S2_PS3_.uses_vcc, 1
	.set _ZN9rocsparseL39csr2bsr_nnz_block_dim_equals_one_kernelILj256EilEEvT1_21rocsparse_index_base_PKT0_S2_PS3_.uses_flat_scratch, 0
	.set _ZN9rocsparseL39csr2bsr_nnz_block_dim_equals_one_kernelILj256EilEEvT1_21rocsparse_index_base_PKT0_S2_PS3_.has_dyn_sized_stack, 0
	.set _ZN9rocsparseL39csr2bsr_nnz_block_dim_equals_one_kernelILj256EilEEvT1_21rocsparse_index_base_PKT0_S2_PS3_.has_recursion, 0
	.set _ZN9rocsparseL39csr2bsr_nnz_block_dim_equals_one_kernelILj256EilEEvT1_21rocsparse_index_base_PKT0_S2_PS3_.has_indirect_call, 0
	.section	.AMDGPU.csdata,"",@progbits
; Kernel info:
; codeLenInByte = 164
; TotalNumSgprs: 10
; NumVgprs: 4
; ScratchSize: 0
; MemoryBound: 0
; FloatMode: 240
; IeeeMode: 1
; LDSByteSize: 0 bytes/workgroup (compile time only)
; SGPRBlocks: 0
; VGPRBlocks: 0
; NumSGPRsForWavesPerEU: 10
; NumVGPRsForWavesPerEU: 4
; NamedBarCnt: 0
; Occupancy: 16
; WaveLimiterHint : 0
; COMPUTE_PGM_RSRC2:SCRATCH_EN: 0
; COMPUTE_PGM_RSRC2:USER_SGPR: 2
; COMPUTE_PGM_RSRC2:TRAP_HANDLER: 0
; COMPUTE_PGM_RSRC2:TGID_X_EN: 1
; COMPUTE_PGM_RSRC2:TGID_Y_EN: 0
; COMPUTE_PGM_RSRC2:TGID_Z_EN: 0
; COMPUTE_PGM_RSRC2:TIDIG_COMP_CNT: 0
	.section	.text._ZN9rocsparseL46csr2bsr_nnz_wavefront_per_row_multipass_kernelILj256ELj16ELj4EilEEvT3_S1_S1_S1_S1_21rocsparse_index_base_PKT2_PKS1_S2_PS3_,"axG",@progbits,_ZN9rocsparseL46csr2bsr_nnz_wavefront_per_row_multipass_kernelILj256ELj16ELj4EilEEvT3_S1_S1_S1_S1_21rocsparse_index_base_PKT2_PKS1_S2_PS3_,comdat
	.globl	_ZN9rocsparseL46csr2bsr_nnz_wavefront_per_row_multipass_kernelILj256ELj16ELj4EilEEvT3_S1_S1_S1_S1_21rocsparse_index_base_PKT2_PKS1_S2_PS3_ ; -- Begin function _ZN9rocsparseL46csr2bsr_nnz_wavefront_per_row_multipass_kernelILj256ELj16ELj4EilEEvT3_S1_S1_S1_S1_21rocsparse_index_base_PKT2_PKS1_S2_PS3_
	.p2align	8
	.type	_ZN9rocsparseL46csr2bsr_nnz_wavefront_per_row_multipass_kernelILj256ELj16ELj4EilEEvT3_S1_S1_S1_S1_21rocsparse_index_base_PKT2_PKS1_S2_PS3_,@function
_ZN9rocsparseL46csr2bsr_nnz_wavefront_per_row_multipass_kernelILj256ELj16ELj4EilEEvT3_S1_S1_S1_S1_21rocsparse_index_base_PKT2_PKS1_S2_PS3_: ; @_ZN9rocsparseL46csr2bsr_nnz_wavefront_per_row_multipass_kernelILj256ELj16ELj4EilEEvT3_S1_S1_S1_S1_21rocsparse_index_base_PKT2_PKS1_S2_PS3_
; %bb.0:
	s_bfe_u32 s2, ttmp6, 0x4000c
	s_clause 0x1
	s_load_b96 s[8:10], s[0:1], 0x20
	s_load_b64 s[14:15], s[0:1], 0x30
	s_add_co_i32 s2, s2, 1
	s_and_b32 s3, ttmp6, 15
	s_mul_i32 s2, ttmp9, s2
	s_getreg_b32 s4, hwreg(HW_REG_IB_STS2, 6, 4)
	s_add_co_i32 s3, s3, s2
	s_cmp_eq_u32 s4, 0
	v_dual_mov_b32 v3, 0 :: v_dual_lshrrev_b32 v12, 4, v0
	s_cselect_b32 s12, ttmp9, s3
	v_bfe_u32 v2, v0, 2, 2
	s_ashr_i32 s13, s12, 31
	v_mov_b64_e32 v[6:7], 0
	s_lshl_b64 s[2:3], s[12:13], 4
	s_delay_alu instid0(SALU_CYCLE_1)
	v_dual_lshlrev_b32 v13, 3, v12 :: v_dual_bitop2_b32 v1, s2, v12 bitop3:0x54
	s_load_b128 s[4:7], s[0:1], 0x10
	ds_store_b64 v13, v[6:7]
	s_wait_kmcnt 0x0
	v_mad_nc_u64_u32 v[4:5], v1, s8, v[2:3]
	s_wait_dscnt 0x0
	s_barrier_signal -1
	s_barrier_wait -1
	s_delay_alu instid0(VALU_DEP_1) | instskip(SKIP_1) | instid1(VALU_DEP_1)
	v_mad_u32 v5, s3, s8, v5
	s_load_b64 s[2:3], s[0:1], 0x0
	v_mad_u32 v5, v1, s9, v5
	v_mov_b32_e32 v1, 0
	s_wait_kmcnt 0x0
	s_delay_alu instid0(VALU_DEP_2) | instskip(SKIP_2) | instid1(SALU_CYCLE_1)
	v_cmp_gt_i64_e32 vcc_lo, s[2:3], v[4:5]
	v_cmp_gt_i64_e64 s2, s[8:9], v[2:3]
	s_and_b32 s2, s2, vcc_lo
	s_and_saveexec_b32 s3, s2
	s_cbranch_execz .LBB24_2
; %bb.1:
	v_lshl_add_u64 v[6:7], v[4:5], 2, s[14:15]
	global_load_b32 v1, v[6:7], off
	s_wait_loadcnt 0x0
	v_subrev_nc_u32_e32 v1, s10, v1
.LBB24_2:
	s_or_b32 exec_lo, exec_lo, s3
	s_and_saveexec_b32 s3, s2
	s_cbranch_execz .LBB24_4
; %bb.3:
	v_lshl_add_u64 v[2:3], v[4:5], 2, s[14:15]
	global_load_b32 v2, v[2:3], off offset:4
	s_wait_loadcnt 0x0
	v_subrev_nc_u32_e32 v3, s10, v2
.LBB24_4:
	s_or_b32 exec_lo, exec_lo, s3
	v_cmp_lt_i64_e64 s2, s[6:7], 1
	v_and_b32_e32 v2, 15, v0
	s_and_b32 vcc_lo, exec_lo, s2
	s_delay_alu instid0(VALU_DEP_1)
	v_cmp_eq_u32_e64 s2, 0, v2
	s_cbranch_vccnz .LBB24_22
; %bb.5:
	v_mbcnt_lo_u32_b32 v4, -1, 0
	v_and_b32_e32 v14, 3, v0
	s_load_b64 s[14:15], s[0:1], 0x38
	s_mov_b32 s11, 0
	s_mov_b32 s16, s10
	v_dual_lshlrev_b32 v8, 2, v4 :: v_dual_bitop2_b32 v5, 1, v4 bitop3:0x14
	v_xor_b32_e32 v0, 2, v4
	v_xor_b32_e32 v7, 4, v4
	v_dual_mov_b32 v21, 1 :: v_dual_bitop2_b32 v6, 8, v4 bitop3:0x14
	s_delay_alu instid0(VALU_DEP_4) | instskip(NEXT) | instid1(VALU_DEP_4)
	v_or_b32_e32 v20, 60, v8
	v_cmp_gt_i32_e32 vcc_lo, 32, v0
	s_mov_b32 s17, s11
	s_mov_b64 s[18:19], 0xffffffff
	s_ashr_i32 s20, s9, 31
	s_sub_co_i32 s24, 0, s8
	v_cndmask_b32_e32 v0, v4, v0, vcc_lo
	v_cmp_gt_i32_e32 vcc_lo, 32, v5
	s_mov_b32 s13, 0
	v_cndmask_b32_e32 v5, v4, v5, vcc_lo
	v_cmp_gt_i32_e32 vcc_lo, 32, v6
	v_dual_mov_b32 v0, 0 :: v_dual_lshlrev_b32 v15, 2, v0
	s_delay_alu instid0(VALU_DEP_3) | instskip(SKIP_1) | instid1(VALU_DEP_2)
	v_dual_lshlrev_b32 v16, 2, v5 :: v_dual_cndmask_b32 v6, v4, v6, vcc_lo
	v_cmp_gt_i32_e32 vcc_lo, 32, v7
	v_dual_lshlrev_b32 v18, 2, v6 :: v_dual_bitop2_b32 v17, 12, v8 bitop3:0x54
	v_cndmask_b32_e32 v4, v4, v7, vcc_lo
	v_mov_b64_e32 v[6:7], 0
	s_delay_alu instid0(VALU_DEP_2)
	v_lshlrev_b32_e32 v19, 2, v4
	s_branch .LBB24_7
.LBB24_6:                               ;   in Loop: Header=BB24_7 Depth=1
	s_or_b32 exec_lo, exec_lo, s3
	ds_bpermute_b32 v6, v18, v4
	ds_bpermute_b32 v7, v18, v5
	s_wait_dscnt 0x0
	v_min_i64 v[4:5], v[6:7], v[4:5]
	ds_bpermute_b32 v6, v19, v4
	ds_bpermute_b32 v7, v19, v5
	s_wait_dscnt 0x0
	v_min_i64 v[4:5], v[6:7], v[4:5]
	ds_bpermute_b32 v6, v15, v4
	ds_bpermute_b32 v7, v15, v5
	s_wait_dscnt 0x0
	v_min_i64 v[4:5], v[6:7], v[4:5]
	ds_bpermute_b32 v6, v16, v4
	ds_bpermute_b32 v7, v16, v5
	s_wait_dscnt 0x0
	v_min_i64 v[4:5], v[6:7], v[4:5]
	ds_bpermute_b32 v6, v20, v4
	s_wait_dscnt 0x0
	v_ashrrev_i32_e32 v7, 31, v6
	s_delay_alu instid0(VALU_DEP_1) | instskip(SKIP_1) | instid1(SALU_CYCLE_1)
	v_cmp_le_i64_e32 vcc_lo, s[6:7], v[6:7]
	s_or_b32 s13, vcc_lo, s13
	s_and_not1_b32 exec_lo, exec_lo, s13
	s_cbranch_execz .LBB24_21
.LBB24_7:                               ; =>This Loop Header: Depth=1
                                        ;     Child Loop BB24_10 Depth 2
	v_mov_b64_e32 v[4:5], s[6:7]
	v_dual_mov_b32 v1, v3 :: v_dual_add_nc_u32 v22, v1, v14
	s_mov_b32 s25, exec_lo
	ds_store_b8 v12, v0 offset:128
	s_wait_dscnt 0x0
	v_cmpx_lt_i32_e64 v22, v3
	s_cbranch_execz .LBB24_19
; %bb.8:                                ;   in Loop: Header=BB24_7 Depth=1
	v_mov_b64_e32 v[4:5], s[6:7]
	v_mov_b32_e32 v23, v3
	s_mov_b32 s26, 0
	s_branch .LBB24_10
.LBB24_9:                               ;   in Loop: Header=BB24_10 Depth=2
	s_or_b32 exec_lo, exec_lo, s3
	s_delay_alu instid0(VALU_DEP_1) | instskip(SKIP_1) | instid1(VALU_DEP_1)
	v_dual_mov_b32 v23, v1 :: v_dual_add_nc_u32 v22, 4, v22
	s_xor_b32 s10, vcc_lo, -1
	v_cmp_ge_i32_e64 s3, v22, v3
	s_or_b32 s3, s10, s3
	s_delay_alu instid0(SALU_CYCLE_1) | instskip(NEXT) | instid1(SALU_CYCLE_1)
	s_and_b32 s3, exec_lo, s3
	s_or_b32 s26, s3, s26
	s_delay_alu instid0(SALU_CYCLE_1)
	s_and_not1_b32 exec_lo, exec_lo, s26
	s_cbranch_execz .LBB24_18
.LBB24_10:                              ;   Parent Loop BB24_7 Depth=1
                                        ; =>  This Inner Loop Header: Depth=2
	s_wait_kmcnt 0x0
	global_load_b64 v[8:9], v22, s[14:15] scale_offset
                                        ; implicit-def: $vgpr10_vgpr11
	s_mov_b32 s3, exec_lo
	s_wait_loadcnt 0x0
	v_sub_nc_u64_e64 v[8:9], v[8:9], s[16:17]
	s_delay_alu instid0(VALU_DEP_1) | instskip(SKIP_1) | instid1(VALU_DEP_1)
	v_or_b32_e32 v1, s9, v9
	s_wait_xcnt 0x0
	v_cmpx_ne_u64_e32 0, v[0:1]
	s_xor_b32 s27, exec_lo, s3
	s_cbranch_execz .LBB24_12
; %bb.11:                               ;   in Loop: Header=BB24_10 Depth=2
	s_mov_b32 s21, s20
	v_dual_mov_b32 v25, v0 :: v_dual_ashrrev_i32 v10, 31, v9
	s_add_nc_u64 s[22:23], s[8:9], s[20:21]
	v_mov_b32_e32 v33, v0
	s_xor_b64 s[22:23], s[22:23], s[20:21]
	s_delay_alu instid0(VALU_DEP_2) | instskip(SKIP_3) | instid1(VALU_DEP_1)
	v_mov_b32_e32 v11, v10
	s_cvt_f32_u32 s3, s22
	s_cvt_f32_u32 s10, s23
	s_sub_nc_u64 s[30:31], 0, s[22:23]
	v_add_nc_u64_e32 v[8:9], v[8:9], v[10:11]
	s_delay_alu instid0(SALU_CYCLE_1) | instskip(SKIP_1) | instid1(SALU_CYCLE_2)
	s_fmamk_f32 s3, s10, 0x4f800000, s3
	v_mov_b32_e32 v29, v0
	v_s_rcp_f32 s3, s3
	s_delay_alu instid0(VALU_DEP_2) | instskip(NEXT) | instid1(VALU_DEP_3)
	v_xor_b32_e32 v24, v8, v10
	v_xor_b32_e32 v28, v9, v10
	s_delay_alu instid0(TRANS32_DEP_1) | instskip(NEXT) | instid1(SALU_CYCLE_3)
	s_mul_f32 s3, s3, 0x5f7ffffc
	s_mul_f32 s10, s3, 0x2f800000
	s_delay_alu instid0(SALU_CYCLE_3) | instskip(NEXT) | instid1(SALU_CYCLE_3)
	s_trunc_f32 s10, s10
	s_fmamk_f32 s3, s10, 0xcf800000, s3
	s_cvt_u32_f32 s29, s10
	s_delay_alu instid0(SALU_CYCLE_2) | instskip(NEXT) | instid1(SALU_CYCLE_3)
	s_cvt_u32_f32 s28, s3
	s_mul_u64 s[34:35], s[30:31], s[28:29]
	s_delay_alu instid0(SALU_CYCLE_1)
	s_mul_hi_u32 s37, s28, s35
	s_mul_i32 s36, s28, s35
	s_mul_hi_u32 s10, s28, s34
	s_mul_i32 s21, s29, s34
	s_add_nc_u64 s[36:37], s[10:11], s[36:37]
	s_mul_hi_u32 s3, s29, s34
	s_mul_hi_u32 s33, s29, s35
	s_add_co_u32 s10, s36, s21
	s_add_co_ci_u32 s10, s37, s3
	s_mul_i32 s34, s29, s35
	s_add_co_ci_u32 s35, s33, 0
	s_delay_alu instid0(SALU_CYCLE_1) | instskip(NEXT) | instid1(SALU_CYCLE_1)
	s_add_nc_u64 s[34:35], s[10:11], s[34:35]
	s_add_co_u32 s28, s28, s34
	s_cselect_b32 s3, -1, 0
	s_delay_alu instid0(SALU_CYCLE_1) | instskip(SKIP_1) | instid1(SALU_CYCLE_1)
	s_cmp_lg_u32 s3, 0
	s_add_co_ci_u32 s29, s29, s35
	s_mul_u64 s[30:31], s[30:31], s[28:29]
	s_delay_alu instid0(SALU_CYCLE_1)
	s_mul_hi_u32 s35, s28, s31
	s_mul_i32 s34, s28, s31
	s_mul_hi_u32 s10, s28, s30
	s_mul_i32 s21, s29, s30
	s_add_nc_u64 s[34:35], s[10:11], s[34:35]
	s_mul_hi_u32 s3, s29, s30
	s_mul_hi_u32 s33, s29, s31
	s_add_co_u32 s10, s34, s21
	s_add_co_ci_u32 s10, s35, s3
	s_mul_i32 s30, s29, s31
	s_add_co_ci_u32 s31, s33, 0
	s_delay_alu instid0(SALU_CYCLE_1) | instskip(NEXT) | instid1(SALU_CYCLE_1)
	s_add_nc_u64 s[30:31], s[10:11], s[30:31]
	s_add_co_u32 s28, s28, s30
	s_cselect_b32 s3, -1, 0
	v_mul_hi_u32 v32, v24, s28
	s_cmp_lg_u32 s3, 0
	s_add_co_ci_u32 s10, s29, s31
	s_and_b64 s[30:31], s[28:29], s[18:19]
	v_mul_u64_e32 v[26:27], s[10:11], v[24:25]
	v_mul_u64_e32 v[8:9], s[30:31], v[28:29]
	;; [unrolled: 1-line block ×3, first 2 shown]
	s_delay_alu instid0(VALU_DEP_3) | instskip(NEXT) | instid1(VALU_DEP_1)
	v_add_nc_u64_e32 v[26:27], v[32:33], v[26:27]
	v_add_co_u32 v1, vcc_lo, v26, v8
	s_delay_alu instid0(VALU_DEP_2) | instskip(NEXT) | instid1(VALU_DEP_4)
	v_add_co_ci_u32_e32 v32, vcc_lo, v27, v9, vcc_lo
	v_add_co_ci_u32_e32 v31, vcc_lo, 0, v31, vcc_lo
	s_delay_alu instid0(VALU_DEP_1) | instskip(NEXT) | instid1(VALU_DEP_1)
	v_add_nc_u64_e32 v[8:9], v[32:33], v[30:31]
	v_mul_u64_e32 v[26:27], s[22:23], v[8:9]
	s_delay_alu instid0(VALU_DEP_1) | instskip(NEXT) | instid1(VALU_DEP_2)
	v_sub_nc_u32_e32 v1, v28, v27
	v_sub_co_u32 v11, vcc_lo, v24, v26
	s_delay_alu instid0(VALU_DEP_1) | instskip(NEXT) | instid1(VALU_DEP_3)
	v_sub_co_ci_u32_e64 v28, null, v28, v27, vcc_lo
	v_subrev_co_ci_u32_e64 v1, null, s23, v1, vcc_lo
	s_delay_alu instid0(VALU_DEP_3) | instskip(SKIP_1) | instid1(VALU_DEP_3)
	v_sub_co_u32 v24, s3, v11, s22
	v_add_nc_u64_e32 v[26:27], 1, v[8:9]
	v_subrev_co_ci_u32_e64 v1, null, 0, v1, s3
	s_delay_alu instid0(VALU_DEP_3) | instskip(SKIP_1) | instid1(VALU_DEP_3)
	v_cmp_le_u32_e32 vcc_lo, s22, v24
	v_cndmask_b32_e64 v24, 0, -1, vcc_lo
	v_cmp_le_u32_e32 vcc_lo, s23, v1
	v_cndmask_b32_e64 v25, 0, -1, vcc_lo
	;; [unrolled: 2-line block ×4, first 2 shown]
	v_cmp_eq_u32_e32 vcc_lo, s23, v1
	v_cndmask_b32_e32 v1, v25, v24, vcc_lo
	v_cmp_eq_u32_e32 vcc_lo, s23, v28
	v_add_nc_u64_e32 v[24:25], 2, v[8:9]
	v_cndmask_b32_e32 v11, v29, v11, vcc_lo
	s_delay_alu instid0(VALU_DEP_4) | instskip(NEXT) | instid1(VALU_DEP_3)
	v_cmp_ne_u32_e32 vcc_lo, 0, v1
	v_cndmask_b32_e32 v1, v27, v25, vcc_lo
	s_delay_alu instid0(VALU_DEP_3) | instskip(SKIP_1) | instid1(VALU_DEP_1)
	v_cmp_ne_u32_e64 s3, 0, v11
	v_dual_cndmask_b32 v11, v26, v24, vcc_lo :: v_dual_bitop2_b32 v10, s20, v10 bitop3:0x14
	v_dual_cndmask_b32 v1, v9, v1, s3 :: v_dual_cndmask_b32 v8, v8, v11, s3
	s_delay_alu instid0(VALU_DEP_1) | instskip(NEXT) | instid1(VALU_DEP_2)
	v_dual_mov_b32 v11, v10 :: v_dual_bitop2_b32 v9, v1, v10 bitop3:0x14
	v_xor_b32_e32 v8, v8, v10
	s_delay_alu instid0(VALU_DEP_1)
	v_sub_nc_u64_e32 v[10:11], v[8:9], v[10:11]
                                        ; implicit-def: $vgpr8_vgpr9
.LBB24_12:                              ;   in Loop: Header=BB24_10 Depth=2
	s_and_not1_saveexec_b32 s3, s27
	s_cbranch_execz .LBB24_14
; %bb.13:                               ;   in Loop: Header=BB24_10 Depth=2
	v_cvt_f32_u32_e32 v1, s8
	v_mov_b32_e32 v11, v0
	s_delay_alu instid0(VALU_DEP_2) | instskip(SKIP_1) | instid1(TRANS32_DEP_1)
	v_rcp_iflag_f32_e32 v1, v1
	v_nop
	v_mul_f32_e32 v1, 0x4f7ffffe, v1
	s_delay_alu instid0(VALU_DEP_1) | instskip(NEXT) | instid1(VALU_DEP_1)
	v_cvt_u32_f32_e32 v1, v1
	v_mul_lo_u32 v9, s24, v1
	s_delay_alu instid0(VALU_DEP_1) | instskip(NEXT) | instid1(VALU_DEP_1)
	v_mul_hi_u32 v9, v1, v9
	v_add_nc_u32_e32 v1, v1, v9
	s_delay_alu instid0(VALU_DEP_1) | instskip(NEXT) | instid1(VALU_DEP_1)
	v_mul_hi_u32 v1, v8, v1
	v_mul_lo_u32 v9, v1, s8
	s_delay_alu instid0(VALU_DEP_1) | instskip(SKIP_1) | instid1(VALU_DEP_2)
	v_sub_nc_u32_e32 v8, v8, v9
	v_add_nc_u32_e32 v9, 1, v1
	v_subrev_nc_u32_e32 v10, s8, v8
	v_cmp_le_u32_e32 vcc_lo, s8, v8
	s_delay_alu instid0(VALU_DEP_2) | instskip(NEXT) | instid1(VALU_DEP_1)
	v_dual_cndmask_b32 v8, v8, v10 :: v_dual_cndmask_b32 v1, v1, v9
	v_cmp_le_u32_e32 vcc_lo, s8, v8
	s_delay_alu instid0(VALU_DEP_2) | instskip(NEXT) | instid1(VALU_DEP_1)
	v_add_nc_u32_e32 v9, 1, v1
	v_cndmask_b32_e32 v10, v1, v9, vcc_lo
.LBB24_14:                              ;   in Loop: Header=BB24_10 Depth=2
	s_or_b32 exec_lo, exec_lo, s3
	s_delay_alu instid0(VALU_DEP_1) | instskip(SKIP_2) | instid1(SALU_CYCLE_1)
	v_cmp_ne_u64_e64 s3, v[10:11], v[6:7]
	v_cmp_eq_u64_e32 vcc_lo, v[10:11], v[6:7]
	s_and_saveexec_b32 s10, s3
	s_xor_b32 s3, exec_lo, s10
; %bb.15:                               ;   in Loop: Header=BB24_10 Depth=2
	v_min_i64 v[4:5], v[10:11], v[4:5]
                                        ; implicit-def: $vgpr23
; %bb.16:                               ;   in Loop: Header=BB24_10 Depth=2
	s_or_saveexec_b32 s3, s3
	v_mov_b32_e32 v1, v22
	s_xor_b32 exec_lo, exec_lo, s3
	s_cbranch_execz .LBB24_9
; %bb.17:                               ;   in Loop: Header=BB24_10 Depth=2
	v_mov_b32_e32 v1, v23
	ds_store_b8 v12, v21 offset:128
	s_branch .LBB24_9
.LBB24_18:                              ;   in Loop: Header=BB24_7 Depth=1
	s_or_b32 exec_lo, exec_lo, s26
.LBB24_19:                              ;   in Loop: Header=BB24_7 Depth=1
	s_delay_alu instid0(SALU_CYCLE_1)
	s_or_b32 exec_lo, exec_lo, s25
	ds_bpermute_b32 v6, v15, v1
	s_wait_dscnt 0x0
	ds_load_u8 v7, v12 offset:128
	v_min_i32_e32 v1, v6, v1
	ds_bpermute_b32 v6, v16, v1
	s_wait_dscnt 0x0
	v_min_i32_e32 v1, v6, v1
	v_and_b32_e32 v6, 1, v7
	ds_bpermute_b32 v1, v17, v1
	v_cmp_eq_u32_e32 vcc_lo, 1, v6
	s_and_b32 s10, s2, vcc_lo
	s_delay_alu instid0(SALU_CYCLE_1)
	s_and_saveexec_b32 s3, s10
	s_cbranch_execz .LBB24_6
; %bb.20:                               ;   in Loop: Header=BB24_7 Depth=1
	ds_load_b64 v[6:7], v13
	s_wait_dscnt 0x0
	v_add_nc_u64_e32 v[6:7], 1, v[6:7]
	ds_store_b64 v13, v[6:7]
	s_branch .LBB24_6
.LBB24_21:
	s_or_b32 exec_lo, exec_lo, s13
.LBB24_22:
	s_delay_alu instid0(SALU_CYCLE_1)
	s_mov_b32 s2, exec_lo
	v_cmpx_eq_u32_e32 0, v2
	s_cbranch_execz .LBB24_25
; %bb.23:
	s_clause 0x1
	s_load_b32 s6, s[0:1], 0x40
	s_load_b64 s[2:3], s[0:1], 0x48
	v_mov_b32_e32 v1, 0
	v_lshl_or_b32 v0, s12, 4, v12
	s_wait_kmcnt 0x0
	v_mov_b32_e32 v2, s6
	s_delay_alu instid0(VALU_DEP_2)
	v_cmp_gt_i64_e32 vcc_lo, s[4:5], v[0:1]
	global_store_b32 v1, v2, s[2:3]
	s_wait_xcnt 0x0
	s_and_b32 exec_lo, exec_lo, vcc_lo
	s_cbranch_execz .LBB24_25
; %bb.24:
	ds_load_b32 v1, v13
	v_add_nc_u32_e32 v0, 1, v0
	s_wait_dscnt 0x0
	global_store_b32 v0, v1, s[2:3] scale_offset
.LBB24_25:
	s_endpgm
	.section	.rodata,"a",@progbits
	.p2align	6, 0x0
	.amdhsa_kernel _ZN9rocsparseL46csr2bsr_nnz_wavefront_per_row_multipass_kernelILj256ELj16ELj4EilEEvT3_S1_S1_S1_S1_21rocsparse_index_base_PKT2_PKS1_S2_PS3_
		.amdhsa_group_segment_fixed_size 144
		.amdhsa_private_segment_fixed_size 0
		.amdhsa_kernarg_size 80
		.amdhsa_user_sgpr_count 2
		.amdhsa_user_sgpr_dispatch_ptr 0
		.amdhsa_user_sgpr_queue_ptr 0
		.amdhsa_user_sgpr_kernarg_segment_ptr 1
		.amdhsa_user_sgpr_dispatch_id 0
		.amdhsa_user_sgpr_kernarg_preload_length 0
		.amdhsa_user_sgpr_kernarg_preload_offset 0
		.amdhsa_user_sgpr_private_segment_size 0
		.amdhsa_wavefront_size32 1
		.amdhsa_uses_dynamic_stack 0
		.amdhsa_enable_private_segment 0
		.amdhsa_system_sgpr_workgroup_id_x 1
		.amdhsa_system_sgpr_workgroup_id_y 0
		.amdhsa_system_sgpr_workgroup_id_z 0
		.amdhsa_system_sgpr_workgroup_info 0
		.amdhsa_system_vgpr_workitem_id 0
		.amdhsa_next_free_vgpr 34
		.amdhsa_next_free_sgpr 38
		.amdhsa_named_barrier_count 0
		.amdhsa_reserve_vcc 1
		.amdhsa_float_round_mode_32 0
		.amdhsa_float_round_mode_16_64 0
		.amdhsa_float_denorm_mode_32 3
		.amdhsa_float_denorm_mode_16_64 3
		.amdhsa_fp16_overflow 0
		.amdhsa_memory_ordered 1
		.amdhsa_forward_progress 1
		.amdhsa_inst_pref_size 15
		.amdhsa_round_robin_scheduling 0
		.amdhsa_exception_fp_ieee_invalid_op 0
		.amdhsa_exception_fp_denorm_src 0
		.amdhsa_exception_fp_ieee_div_zero 0
		.amdhsa_exception_fp_ieee_overflow 0
		.amdhsa_exception_fp_ieee_underflow 0
		.amdhsa_exception_fp_ieee_inexact 0
		.amdhsa_exception_int_div_zero 0
	.end_amdhsa_kernel
	.section	.text._ZN9rocsparseL46csr2bsr_nnz_wavefront_per_row_multipass_kernelILj256ELj16ELj4EilEEvT3_S1_S1_S1_S1_21rocsparse_index_base_PKT2_PKS1_S2_PS3_,"axG",@progbits,_ZN9rocsparseL46csr2bsr_nnz_wavefront_per_row_multipass_kernelILj256ELj16ELj4EilEEvT3_S1_S1_S1_S1_21rocsparse_index_base_PKT2_PKS1_S2_PS3_,comdat
.Lfunc_end24:
	.size	_ZN9rocsparseL46csr2bsr_nnz_wavefront_per_row_multipass_kernelILj256ELj16ELj4EilEEvT3_S1_S1_S1_S1_21rocsparse_index_base_PKT2_PKS1_S2_PS3_, .Lfunc_end24-_ZN9rocsparseL46csr2bsr_nnz_wavefront_per_row_multipass_kernelILj256ELj16ELj4EilEEvT3_S1_S1_S1_S1_21rocsparse_index_base_PKT2_PKS1_S2_PS3_
                                        ; -- End function
	.set _ZN9rocsparseL46csr2bsr_nnz_wavefront_per_row_multipass_kernelILj256ELj16ELj4EilEEvT3_S1_S1_S1_S1_21rocsparse_index_base_PKT2_PKS1_S2_PS3_.num_vgpr, 34
	.set _ZN9rocsparseL46csr2bsr_nnz_wavefront_per_row_multipass_kernelILj256ELj16ELj4EilEEvT3_S1_S1_S1_S1_21rocsparse_index_base_PKT2_PKS1_S2_PS3_.num_agpr, 0
	.set _ZN9rocsparseL46csr2bsr_nnz_wavefront_per_row_multipass_kernelILj256ELj16ELj4EilEEvT3_S1_S1_S1_S1_21rocsparse_index_base_PKT2_PKS1_S2_PS3_.numbered_sgpr, 38
	.set _ZN9rocsparseL46csr2bsr_nnz_wavefront_per_row_multipass_kernelILj256ELj16ELj4EilEEvT3_S1_S1_S1_S1_21rocsparse_index_base_PKT2_PKS1_S2_PS3_.num_named_barrier, 0
	.set _ZN9rocsparseL46csr2bsr_nnz_wavefront_per_row_multipass_kernelILj256ELj16ELj4EilEEvT3_S1_S1_S1_S1_21rocsparse_index_base_PKT2_PKS1_S2_PS3_.private_seg_size, 0
	.set _ZN9rocsparseL46csr2bsr_nnz_wavefront_per_row_multipass_kernelILj256ELj16ELj4EilEEvT3_S1_S1_S1_S1_21rocsparse_index_base_PKT2_PKS1_S2_PS3_.uses_vcc, 1
	.set _ZN9rocsparseL46csr2bsr_nnz_wavefront_per_row_multipass_kernelILj256ELj16ELj4EilEEvT3_S1_S1_S1_S1_21rocsparse_index_base_PKT2_PKS1_S2_PS3_.uses_flat_scratch, 0
	.set _ZN9rocsparseL46csr2bsr_nnz_wavefront_per_row_multipass_kernelILj256ELj16ELj4EilEEvT3_S1_S1_S1_S1_21rocsparse_index_base_PKT2_PKS1_S2_PS3_.has_dyn_sized_stack, 0
	.set _ZN9rocsparseL46csr2bsr_nnz_wavefront_per_row_multipass_kernelILj256ELj16ELj4EilEEvT3_S1_S1_S1_S1_21rocsparse_index_base_PKT2_PKS1_S2_PS3_.has_recursion, 0
	.set _ZN9rocsparseL46csr2bsr_nnz_wavefront_per_row_multipass_kernelILj256ELj16ELj4EilEEvT3_S1_S1_S1_S1_21rocsparse_index_base_PKT2_PKS1_S2_PS3_.has_indirect_call, 0
	.section	.AMDGPU.csdata,"",@progbits
; Kernel info:
; codeLenInByte = 1800
; TotalNumSgprs: 40
; NumVgprs: 34
; ScratchSize: 0
; MemoryBound: 0
; FloatMode: 240
; IeeeMode: 1
; LDSByteSize: 144 bytes/workgroup (compile time only)
; SGPRBlocks: 0
; VGPRBlocks: 2
; NumSGPRsForWavesPerEU: 40
; NumVGPRsForWavesPerEU: 34
; NamedBarCnt: 0
; Occupancy: 16
; WaveLimiterHint : 0
; COMPUTE_PGM_RSRC2:SCRATCH_EN: 0
; COMPUTE_PGM_RSRC2:USER_SGPR: 2
; COMPUTE_PGM_RSRC2:TRAP_HANDLER: 0
; COMPUTE_PGM_RSRC2:TGID_X_EN: 1
; COMPUTE_PGM_RSRC2:TGID_Y_EN: 0
; COMPUTE_PGM_RSRC2:TGID_Z_EN: 0
; COMPUTE_PGM_RSRC2:TIDIG_COMP_CNT: 0
	.section	.text._ZN9rocsparseL46csr2bsr_nnz_wavefront_per_row_multipass_kernelILj256ELj64ELj8EilEEvT3_S1_S1_S1_S1_21rocsparse_index_base_PKT2_PKS1_S2_PS3_,"axG",@progbits,_ZN9rocsparseL46csr2bsr_nnz_wavefront_per_row_multipass_kernelILj256ELj64ELj8EilEEvT3_S1_S1_S1_S1_21rocsparse_index_base_PKT2_PKS1_S2_PS3_,comdat
	.globl	_ZN9rocsparseL46csr2bsr_nnz_wavefront_per_row_multipass_kernelILj256ELj64ELj8EilEEvT3_S1_S1_S1_S1_21rocsparse_index_base_PKT2_PKS1_S2_PS3_ ; -- Begin function _ZN9rocsparseL46csr2bsr_nnz_wavefront_per_row_multipass_kernelILj256ELj64ELj8EilEEvT3_S1_S1_S1_S1_21rocsparse_index_base_PKT2_PKS1_S2_PS3_
	.p2align	8
	.type	_ZN9rocsparseL46csr2bsr_nnz_wavefront_per_row_multipass_kernelILj256ELj64ELj8EilEEvT3_S1_S1_S1_S1_21rocsparse_index_base_PKT2_PKS1_S2_PS3_,@function
_ZN9rocsparseL46csr2bsr_nnz_wavefront_per_row_multipass_kernelILj256ELj64ELj8EilEEvT3_S1_S1_S1_S1_21rocsparse_index_base_PKT2_PKS1_S2_PS3_: ; @_ZN9rocsparseL46csr2bsr_nnz_wavefront_per_row_multipass_kernelILj256ELj64ELj8EilEEvT3_S1_S1_S1_S1_21rocsparse_index_base_PKT2_PKS1_S2_PS3_
; %bb.0:
	s_bfe_u32 s2, ttmp6, 0x4000c
	s_clause 0x1
	s_load_b96 s[8:10], s[0:1], 0x20
	s_load_b64 s[14:15], s[0:1], 0x30
	s_add_co_i32 s2, s2, 1
	s_and_b32 s3, ttmp6, 15
	s_mul_i32 s2, ttmp9, s2
	s_getreg_b32 s4, hwreg(HW_REG_IB_STS2, 6, 4)
	s_add_co_i32 s3, s3, s2
	s_cmp_eq_u32 s4, 0
	v_dual_mov_b32 v3, 0 :: v_dual_lshrrev_b32 v12, 6, v0
	s_cselect_b32 s12, ttmp9, s3
	v_bfe_u32 v2, v0, 3, 3
	s_ashr_i32 s13, s12, 31
	v_mov_b64_e32 v[6:7], 0
	s_lshl_b64 s[2:3], s[12:13], 2
	s_delay_alu instid0(SALU_CYCLE_1)
	v_dual_lshlrev_b32 v13, 3, v12 :: v_dual_bitop2_b32 v1, s2, v12 bitop3:0x54
	s_load_b128 s[4:7], s[0:1], 0x10
	ds_store_b64 v13, v[6:7]
	s_wait_kmcnt 0x0
	v_mad_nc_u64_u32 v[4:5], v1, s8, v[2:3]
	s_wait_dscnt 0x0
	s_barrier_signal -1
	s_barrier_wait -1
	s_delay_alu instid0(VALU_DEP_1) | instskip(SKIP_1) | instid1(VALU_DEP_1)
	v_mad_u32 v5, s3, s8, v5
	s_load_b64 s[2:3], s[0:1], 0x0
	v_mad_u32 v5, v1, s9, v5
	v_mov_b32_e32 v1, 0
	s_wait_kmcnt 0x0
	s_delay_alu instid0(VALU_DEP_2) | instskip(SKIP_2) | instid1(SALU_CYCLE_1)
	v_cmp_gt_i64_e32 vcc_lo, s[2:3], v[4:5]
	v_cmp_gt_i64_e64 s2, s[8:9], v[2:3]
	s_and_b32 s2, s2, vcc_lo
	s_and_saveexec_b32 s3, s2
	s_cbranch_execz .LBB25_2
; %bb.1:
	v_lshl_add_u64 v[6:7], v[4:5], 2, s[14:15]
	global_load_b32 v1, v[6:7], off
	s_wait_loadcnt 0x0
	v_subrev_nc_u32_e32 v1, s10, v1
.LBB25_2:
	s_or_b32 exec_lo, exec_lo, s3
	s_and_saveexec_b32 s3, s2
	s_cbranch_execz .LBB25_4
; %bb.3:
	v_lshl_add_u64 v[2:3], v[4:5], 2, s[14:15]
	global_load_b32 v2, v[2:3], off offset:4
	s_wait_loadcnt 0x0
	v_subrev_nc_u32_e32 v3, s10, v2
.LBB25_4:
	s_or_b32 exec_lo, exec_lo, s3
	v_cmp_lt_i64_e64 s2, s[6:7], 1
	v_and_b32_e32 v2, 63, v0
	s_and_b32 vcc_lo, exec_lo, s2
	s_delay_alu instid0(VALU_DEP_1)
	v_cmp_eq_u32_e64 s2, 0, v2
	s_cbranch_vccnz .LBB25_22
; %bb.5:
	v_mbcnt_lo_u32_b32 v4, -1, 0
	s_load_b64 s[14:15], s[0:1], 0x38
	v_bfrev_b32_e32 v22, 0.5
	v_mov_b32_e32 v23, 1
	s_mov_b32 s11, 0
	v_or_b32_e32 v7, 32, v4
	v_xor_b32_e32 v5, 4, v4
	v_xor_b32_e32 v6, 1, v4
	v_lshl_or_b32 v18, v4, 2, 28
	s_mov_b32 s16, s10
	s_mov_b32 s17, s11
	v_cmp_gt_i32_e32 vcc_lo, 32, v5
	v_and_b32_e32 v14, 7, v0
	s_mov_b64 s[18:19], 0xffffffff
	s_ashr_i32 s20, s9, 31
	s_sub_co_i32 s24, 0, s8
	v_dual_cndmask_b32 v5, v4, v5, vcc_lo :: v_dual_bitop2_b32 v0, 2, v4 bitop3:0x14
	s_mov_b32 s13, 0
	s_delay_alu instid0(VALU_DEP_1) | instskip(NEXT) | instid1(VALU_DEP_2)
	v_lshlrev_b32_e32 v15, 2, v5
	v_cmp_gt_i32_e32 vcc_lo, 32, v0
	v_cndmask_b32_e32 v0, v4, v0, vcc_lo
	v_cmp_gt_i32_e32 vcc_lo, 32, v6
	v_cndmask_b32_e32 v5, v4, v6, vcc_lo
	v_cmp_gt_i32_e32 vcc_lo, 32, v7
	s_delay_alu instid0(VALU_DEP_4) | instskip(NEXT) | instid1(VALU_DEP_3)
	v_lshlrev_b32_e32 v16, 2, v0
	v_dual_lshlrev_b32 v17, 2, v5 :: v_dual_bitop2_b32 v6, 8, v4 bitop3:0x14
	v_dual_cndmask_b32 v7, v4, v7, vcc_lo :: v_dual_bitop2_b32 v0, 16, v4 bitop3:0x14
	s_delay_alu instid0(VALU_DEP_1) | instskip(NEXT) | instid1(VALU_DEP_2)
	v_lshlrev_b32_e32 v19, 2, v7
	v_cmp_gt_i32_e32 vcc_lo, 32, v0
	v_cndmask_b32_e32 v0, v4, v0, vcc_lo
	s_delay_alu instid0(VALU_DEP_1) | instskip(SKIP_2) | instid1(VALU_DEP_1)
	v_dual_lshlrev_b32 v20, 2, v0 :: v_dual_mov_b32 v0, 0
	v_cmp_gt_i32_e32 vcc_lo, 32, v6
	v_cndmask_b32_e32 v6, v4, v6, vcc_lo
	v_lshlrev_b32_e32 v21, 2, v6
	v_mov_b64_e32 v[6:7], 0
	s_branch .LBB25_7
.LBB25_6:                               ;   in Loop: Header=BB25_7 Depth=1
	s_or_b32 exec_lo, exec_lo, s3
	ds_bpermute_b32 v6, v19, v4
	ds_bpermute_b32 v7, v19, v5
	s_wait_dscnt 0x0
	v_min_i64 v[4:5], v[6:7], v[4:5]
	ds_bpermute_b32 v6, v20, v4
	ds_bpermute_b32 v7, v20, v5
	s_wait_dscnt 0x0
	v_min_i64 v[4:5], v[6:7], v[4:5]
	;; [unrolled: 4-line block ×6, first 2 shown]
	ds_bpermute_b32 v6, v22, v4
	s_wait_dscnt 0x0
	v_ashrrev_i32_e32 v7, 31, v6
	s_delay_alu instid0(VALU_DEP_1) | instskip(SKIP_1) | instid1(SALU_CYCLE_1)
	v_cmp_le_i64_e32 vcc_lo, s[6:7], v[6:7]
	s_or_b32 s13, vcc_lo, s13
	s_and_not1_b32 exec_lo, exec_lo, s13
	s_cbranch_execz .LBB25_21
.LBB25_7:                               ; =>This Loop Header: Depth=1
                                        ;     Child Loop BB25_10 Depth 2
	v_mov_b64_e32 v[4:5], s[6:7]
	v_dual_mov_b32 v1, v3 :: v_dual_add_nc_u32 v24, v1, v14
	s_mov_b32 s25, exec_lo
	ds_store_b8 v12, v0 offset:32
	s_wait_dscnt 0x0
	v_cmpx_lt_i32_e64 v24, v3
	s_cbranch_execz .LBB25_19
; %bb.8:                                ;   in Loop: Header=BB25_7 Depth=1
	v_mov_b64_e32 v[4:5], s[6:7]
	v_mov_b32_e32 v25, v3
	s_mov_b32 s26, 0
	s_branch .LBB25_10
.LBB25_9:                               ;   in Loop: Header=BB25_10 Depth=2
	s_or_b32 exec_lo, exec_lo, s3
	s_delay_alu instid0(VALU_DEP_1) | instskip(SKIP_1) | instid1(VALU_DEP_1)
	v_dual_mov_b32 v25, v1 :: v_dual_add_nc_u32 v24, 8, v24
	s_xor_b32 s10, vcc_lo, -1
	v_cmp_ge_i32_e64 s3, v24, v3
	s_or_b32 s3, s10, s3
	s_delay_alu instid0(SALU_CYCLE_1) | instskip(NEXT) | instid1(SALU_CYCLE_1)
	s_and_b32 s3, exec_lo, s3
	s_or_b32 s26, s3, s26
	s_delay_alu instid0(SALU_CYCLE_1)
	s_and_not1_b32 exec_lo, exec_lo, s26
	s_cbranch_execz .LBB25_18
.LBB25_10:                              ;   Parent Loop BB25_7 Depth=1
                                        ; =>  This Inner Loop Header: Depth=2
	s_wait_kmcnt 0x0
	global_load_b64 v[8:9], v24, s[14:15] scale_offset
                                        ; implicit-def: $vgpr10_vgpr11
	s_mov_b32 s3, exec_lo
	s_wait_loadcnt 0x0
	v_sub_nc_u64_e64 v[8:9], v[8:9], s[16:17]
	s_delay_alu instid0(VALU_DEP_1) | instskip(SKIP_1) | instid1(VALU_DEP_1)
	v_or_b32_e32 v1, s9, v9
	s_wait_xcnt 0x0
	v_cmpx_ne_u64_e32 0, v[0:1]
	s_xor_b32 s27, exec_lo, s3
	s_cbranch_execz .LBB25_12
; %bb.11:                               ;   in Loop: Header=BB25_10 Depth=2
	s_mov_b32 s21, s20
	v_dual_mov_b32 v27, v0 :: v_dual_ashrrev_i32 v10, 31, v9
	s_add_nc_u64 s[22:23], s[8:9], s[20:21]
	s_delay_alu instid0(SALU_CYCLE_1) | instskip(NEXT) | instid1(VALU_DEP_1)
	s_xor_b64 s[22:23], s[22:23], s[20:21]
	v_mov_b32_e32 v11, v10
	s_cvt_f32_u32 s3, s22
	s_cvt_f32_u32 s10, s23
	s_sub_nc_u64 s[30:31], 0, s[22:23]
	s_delay_alu instid0(VALU_DEP_1) | instskip(NEXT) | instid1(SALU_CYCLE_1)
	v_add_nc_u64_e32 v[8:9], v[8:9], v[10:11]
	s_fmamk_f32 s3, s10, 0x4f800000, s3
	v_mov_b32_e32 v31, v0
	s_delay_alu instid0(SALU_CYCLE_2) | instskip(NEXT) | instid1(VALU_DEP_2)
	v_s_rcp_f32 s3, s3
	v_xor_b32_e32 v26, v8, v10
	s_delay_alu instid0(VALU_DEP_3) | instskip(SKIP_1) | instid1(TRANS32_DEP_1)
	v_dual_mov_b32 v35, v0 :: v_dual_bitop2_b32 v30, v9, v10 bitop3:0x14
	v_xor_b32_e32 v10, s20, v10
	s_mul_f32 s3, s3, 0x5f7ffffc
	s_delay_alu instid0(SALU_CYCLE_3) | instskip(NEXT) | instid1(SALU_CYCLE_3)
	s_mul_f32 s10, s3, 0x2f800000
	s_trunc_f32 s10, s10
	s_delay_alu instid0(SALU_CYCLE_3) | instskip(SKIP_1) | instid1(SALU_CYCLE_2)
	s_fmamk_f32 s3, s10, 0xcf800000, s3
	s_cvt_u32_f32 s29, s10
	s_cvt_u32_f32 s28, s3
	s_delay_alu instid0(SALU_CYCLE_3) | instskip(NEXT) | instid1(SALU_CYCLE_1)
	s_mul_u64 s[34:35], s[30:31], s[28:29]
	s_mul_hi_u32 s37, s28, s35
	s_mul_i32 s36, s28, s35
	s_mul_hi_u32 s10, s28, s34
	s_mul_i32 s21, s29, s34
	s_add_nc_u64 s[36:37], s[10:11], s[36:37]
	s_mul_hi_u32 s3, s29, s34
	s_mul_hi_u32 s33, s29, s35
	s_add_co_u32 s10, s36, s21
	s_add_co_ci_u32 s10, s37, s3
	s_mul_i32 s34, s29, s35
	s_add_co_ci_u32 s35, s33, 0
	s_delay_alu instid0(SALU_CYCLE_1) | instskip(NEXT) | instid1(SALU_CYCLE_1)
	s_add_nc_u64 s[34:35], s[10:11], s[34:35]
	s_add_co_u32 s28, s28, s34
	s_cselect_b32 s3, -1, 0
	s_delay_alu instid0(SALU_CYCLE_1) | instskip(SKIP_1) | instid1(SALU_CYCLE_1)
	s_cmp_lg_u32 s3, 0
	s_add_co_ci_u32 s29, s29, s35
	s_mul_u64 s[30:31], s[30:31], s[28:29]
	s_delay_alu instid0(SALU_CYCLE_1)
	s_mul_hi_u32 s35, s28, s31
	s_mul_i32 s34, s28, s31
	s_mul_hi_u32 s10, s28, s30
	s_mul_i32 s21, s29, s30
	s_add_nc_u64 s[34:35], s[10:11], s[34:35]
	s_mul_hi_u32 s3, s29, s30
	s_mul_hi_u32 s33, s29, s31
	s_add_co_u32 s10, s34, s21
	s_add_co_ci_u32 s10, s35, s3
	s_mul_i32 s30, s29, s31
	s_add_co_ci_u32 s31, s33, 0
	s_delay_alu instid0(SALU_CYCLE_1) | instskip(NEXT) | instid1(SALU_CYCLE_1)
	s_add_nc_u64 s[30:31], s[10:11], s[30:31]
	s_add_co_u32 s28, s28, s30
	s_cselect_b32 s3, -1, 0
	v_mul_hi_u32 v34, v26, s28
	s_cmp_lg_u32 s3, 0
	s_add_co_ci_u32 s10, s29, s31
	s_and_b64 s[30:31], s[28:29], s[18:19]
	v_mul_u64_e32 v[28:29], s[10:11], v[26:27]
	v_mul_u64_e32 v[8:9], s[30:31], v[30:31]
	;; [unrolled: 1-line block ×3, first 2 shown]
	s_delay_alu instid0(VALU_DEP_3) | instskip(NEXT) | instid1(VALU_DEP_1)
	v_add_nc_u64_e32 v[28:29], v[34:35], v[28:29]
	v_add_co_u32 v1, vcc_lo, v28, v8
	s_delay_alu instid0(VALU_DEP_2) | instskip(NEXT) | instid1(VALU_DEP_4)
	v_add_co_ci_u32_e32 v34, vcc_lo, v29, v9, vcc_lo
	v_add_co_ci_u32_e32 v33, vcc_lo, 0, v33, vcc_lo
	s_delay_alu instid0(VALU_DEP_1) | instskip(NEXT) | instid1(VALU_DEP_1)
	v_add_nc_u64_e32 v[8:9], v[34:35], v[32:33]
	v_mul_u64_e32 v[28:29], s[22:23], v[8:9]
	s_delay_alu instid0(VALU_DEP_1) | instskip(NEXT) | instid1(VALU_DEP_2)
	v_sub_nc_u32_e32 v1, v30, v29
	v_sub_co_u32 v11, vcc_lo, v26, v28
	s_delay_alu instid0(VALU_DEP_1) | instskip(NEXT) | instid1(VALU_DEP_3)
	v_sub_co_ci_u32_e64 v30, null, v30, v29, vcc_lo
	v_subrev_co_ci_u32_e64 v1, null, s23, v1, vcc_lo
	s_delay_alu instid0(VALU_DEP_3) | instskip(SKIP_1) | instid1(VALU_DEP_3)
	v_sub_co_u32 v26, s3, v11, s22
	v_add_nc_u64_e32 v[28:29], 1, v[8:9]
	v_subrev_co_ci_u32_e64 v1, null, 0, v1, s3
	s_delay_alu instid0(VALU_DEP_3) | instskip(SKIP_1) | instid1(VALU_DEP_3)
	v_cmp_le_u32_e32 vcc_lo, s22, v26
	v_cndmask_b32_e64 v26, 0, -1, vcc_lo
	v_cmp_le_u32_e32 vcc_lo, s23, v1
	v_cndmask_b32_e64 v27, 0, -1, vcc_lo
	;; [unrolled: 2-line block ×4, first 2 shown]
	v_cmp_eq_u32_e32 vcc_lo, s23, v1
	v_cndmask_b32_e32 v1, v27, v26, vcc_lo
	v_cmp_eq_u32_e32 vcc_lo, s23, v30
	v_add_nc_u64_e32 v[26:27], 2, v[8:9]
	v_cndmask_b32_e32 v11, v31, v11, vcc_lo
	s_delay_alu instid0(VALU_DEP_4) | instskip(NEXT) | instid1(VALU_DEP_2)
	v_cmp_ne_u32_e32 vcc_lo, 0, v1
	v_cmp_ne_u32_e64 s3, 0, v11
	s_delay_alu instid0(VALU_DEP_4) | instskip(NEXT) | instid1(VALU_DEP_1)
	v_dual_cndmask_b32 v1, v29, v27, vcc_lo :: v_dual_cndmask_b32 v11, v28, v26, vcc_lo
	v_dual_cndmask_b32 v8, v8, v11, s3 :: v_dual_mov_b32 v11, v10
	s_delay_alu instid0(VALU_DEP_1) | instskip(NEXT) | instid1(VALU_DEP_1)
	v_dual_cndmask_b32 v1, v9, v1, s3 :: v_dual_bitop2_b32 v8, v8, v10 bitop3:0x14
	v_xor_b32_e32 v9, v1, v10
	s_delay_alu instid0(VALU_DEP_1)
	v_sub_nc_u64_e32 v[10:11], v[8:9], v[10:11]
                                        ; implicit-def: $vgpr8_vgpr9
.LBB25_12:                              ;   in Loop: Header=BB25_10 Depth=2
	s_and_not1_saveexec_b32 s3, s27
	s_cbranch_execz .LBB25_14
; %bb.13:                               ;   in Loop: Header=BB25_10 Depth=2
	v_cvt_f32_u32_e32 v1, s8
	v_mov_b32_e32 v11, v0
	s_delay_alu instid0(VALU_DEP_2) | instskip(SKIP_1) | instid1(TRANS32_DEP_1)
	v_rcp_iflag_f32_e32 v1, v1
	v_nop
	v_mul_f32_e32 v1, 0x4f7ffffe, v1
	s_delay_alu instid0(VALU_DEP_1) | instskip(NEXT) | instid1(VALU_DEP_1)
	v_cvt_u32_f32_e32 v1, v1
	v_mul_lo_u32 v9, s24, v1
	s_delay_alu instid0(VALU_DEP_1) | instskip(NEXT) | instid1(VALU_DEP_1)
	v_mul_hi_u32 v9, v1, v9
	v_add_nc_u32_e32 v1, v1, v9
	s_delay_alu instid0(VALU_DEP_1) | instskip(NEXT) | instid1(VALU_DEP_1)
	v_mul_hi_u32 v1, v8, v1
	v_mul_lo_u32 v9, v1, s8
	s_delay_alu instid0(VALU_DEP_1) | instskip(SKIP_1) | instid1(VALU_DEP_2)
	v_sub_nc_u32_e32 v8, v8, v9
	v_add_nc_u32_e32 v9, 1, v1
	v_subrev_nc_u32_e32 v10, s8, v8
	v_cmp_le_u32_e32 vcc_lo, s8, v8
	s_delay_alu instid0(VALU_DEP_2) | instskip(NEXT) | instid1(VALU_DEP_1)
	v_dual_cndmask_b32 v8, v8, v10 :: v_dual_cndmask_b32 v1, v1, v9
	v_cmp_le_u32_e32 vcc_lo, s8, v8
	s_delay_alu instid0(VALU_DEP_2) | instskip(NEXT) | instid1(VALU_DEP_1)
	v_add_nc_u32_e32 v9, 1, v1
	v_cndmask_b32_e32 v10, v1, v9, vcc_lo
.LBB25_14:                              ;   in Loop: Header=BB25_10 Depth=2
	s_or_b32 exec_lo, exec_lo, s3
	s_delay_alu instid0(VALU_DEP_1) | instskip(SKIP_2) | instid1(SALU_CYCLE_1)
	v_cmp_ne_u64_e64 s3, v[10:11], v[6:7]
	v_cmp_eq_u64_e32 vcc_lo, v[10:11], v[6:7]
	s_and_saveexec_b32 s10, s3
	s_xor_b32 s3, exec_lo, s10
; %bb.15:                               ;   in Loop: Header=BB25_10 Depth=2
	v_min_i64 v[4:5], v[10:11], v[4:5]
                                        ; implicit-def: $vgpr25
; %bb.16:                               ;   in Loop: Header=BB25_10 Depth=2
	s_or_saveexec_b32 s3, s3
	v_mov_b32_e32 v1, v24
	s_xor_b32 exec_lo, exec_lo, s3
	s_cbranch_execz .LBB25_9
; %bb.17:                               ;   in Loop: Header=BB25_10 Depth=2
	v_mov_b32_e32 v1, v25
	ds_store_b8 v12, v23 offset:32
	s_branch .LBB25_9
.LBB25_18:                              ;   in Loop: Header=BB25_7 Depth=1
	s_or_b32 exec_lo, exec_lo, s26
.LBB25_19:                              ;   in Loop: Header=BB25_7 Depth=1
	s_delay_alu instid0(SALU_CYCLE_1)
	s_or_b32 exec_lo, exec_lo, s25
	ds_bpermute_b32 v6, v15, v1
	s_wait_dscnt 0x0
	ds_load_u8 v7, v12 offset:32
	v_min_i32_e32 v1, v6, v1
	ds_bpermute_b32 v6, v16, v1
	s_wait_dscnt 0x0
	v_min_i32_e32 v1, v6, v1
	ds_bpermute_b32 v6, v17, v1
	s_wait_dscnt 0x0
	v_min_i32_e32 v1, v6, v1
	v_and_b32_e32 v6, 1, v7
	ds_bpermute_b32 v1, v18, v1
	v_cmp_eq_u32_e32 vcc_lo, 1, v6
	s_and_b32 s10, s2, vcc_lo
	s_delay_alu instid0(SALU_CYCLE_1)
	s_and_saveexec_b32 s3, s10
	s_cbranch_execz .LBB25_6
; %bb.20:                               ;   in Loop: Header=BB25_7 Depth=1
	ds_load_b64 v[6:7], v13
	s_wait_dscnt 0x0
	v_add_nc_u64_e32 v[6:7], 1, v[6:7]
	ds_store_b64 v13, v[6:7]
	s_branch .LBB25_6
.LBB25_21:
	s_or_b32 exec_lo, exec_lo, s13
.LBB25_22:
	s_delay_alu instid0(SALU_CYCLE_1)
	s_mov_b32 s2, exec_lo
	v_cmpx_eq_u32_e32 0, v2
	s_cbranch_execz .LBB25_25
; %bb.23:
	s_clause 0x1
	s_load_b32 s6, s[0:1], 0x40
	s_load_b64 s[2:3], s[0:1], 0x48
	v_mov_b32_e32 v1, 0
	v_lshl_or_b32 v0, s12, 2, v12
	s_wait_kmcnt 0x0
	v_mov_b32_e32 v2, s6
	s_delay_alu instid0(VALU_DEP_2)
	v_cmp_gt_i64_e32 vcc_lo, s[4:5], v[0:1]
	global_store_b32 v1, v2, s[2:3]
	s_wait_xcnt 0x0
	s_and_b32 exec_lo, exec_lo, vcc_lo
	s_cbranch_execz .LBB25_25
; %bb.24:
	ds_load_b32 v1, v13
	v_add_nc_u32_e32 v0, 1, v0
	s_wait_dscnt 0x0
	global_store_b32 v0, v1, s[2:3] scale_offset
.LBB25_25:
	s_endpgm
	.section	.rodata,"a",@progbits
	.p2align	6, 0x0
	.amdhsa_kernel _ZN9rocsparseL46csr2bsr_nnz_wavefront_per_row_multipass_kernelILj256ELj64ELj8EilEEvT3_S1_S1_S1_S1_21rocsparse_index_base_PKT2_PKS1_S2_PS3_
		.amdhsa_group_segment_fixed_size 40
		.amdhsa_private_segment_fixed_size 0
		.amdhsa_kernarg_size 80
		.amdhsa_user_sgpr_count 2
		.amdhsa_user_sgpr_dispatch_ptr 0
		.amdhsa_user_sgpr_queue_ptr 0
		.amdhsa_user_sgpr_kernarg_segment_ptr 1
		.amdhsa_user_sgpr_dispatch_id 0
		.amdhsa_user_sgpr_kernarg_preload_length 0
		.amdhsa_user_sgpr_kernarg_preload_offset 0
		.amdhsa_user_sgpr_private_segment_size 0
		.amdhsa_wavefront_size32 1
		.amdhsa_uses_dynamic_stack 0
		.amdhsa_enable_private_segment 0
		.amdhsa_system_sgpr_workgroup_id_x 1
		.amdhsa_system_sgpr_workgroup_id_y 0
		.amdhsa_system_sgpr_workgroup_id_z 0
		.amdhsa_system_sgpr_workgroup_info 0
		.amdhsa_system_vgpr_workitem_id 0
		.amdhsa_next_free_vgpr 36
		.amdhsa_next_free_sgpr 38
		.amdhsa_named_barrier_count 0
		.amdhsa_reserve_vcc 1
		.amdhsa_float_round_mode_32 0
		.amdhsa_float_round_mode_16_64 0
		.amdhsa_float_denorm_mode_32 3
		.amdhsa_float_denorm_mode_16_64 3
		.amdhsa_fp16_overflow 0
		.amdhsa_memory_ordered 1
		.amdhsa_forward_progress 1
		.amdhsa_inst_pref_size 15
		.amdhsa_round_robin_scheduling 0
		.amdhsa_exception_fp_ieee_invalid_op 0
		.amdhsa_exception_fp_denorm_src 0
		.amdhsa_exception_fp_ieee_div_zero 0
		.amdhsa_exception_fp_ieee_overflow 0
		.amdhsa_exception_fp_ieee_underflow 0
		.amdhsa_exception_fp_ieee_inexact 0
		.amdhsa_exception_int_div_zero 0
	.end_amdhsa_kernel
	.section	.text._ZN9rocsparseL46csr2bsr_nnz_wavefront_per_row_multipass_kernelILj256ELj64ELj8EilEEvT3_S1_S1_S1_S1_21rocsparse_index_base_PKT2_PKS1_S2_PS3_,"axG",@progbits,_ZN9rocsparseL46csr2bsr_nnz_wavefront_per_row_multipass_kernelILj256ELj64ELj8EilEEvT3_S1_S1_S1_S1_21rocsparse_index_base_PKT2_PKS1_S2_PS3_,comdat
.Lfunc_end25:
	.size	_ZN9rocsparseL46csr2bsr_nnz_wavefront_per_row_multipass_kernelILj256ELj64ELj8EilEEvT3_S1_S1_S1_S1_21rocsparse_index_base_PKT2_PKS1_S2_PS3_, .Lfunc_end25-_ZN9rocsparseL46csr2bsr_nnz_wavefront_per_row_multipass_kernelILj256ELj64ELj8EilEEvT3_S1_S1_S1_S1_21rocsparse_index_base_PKT2_PKS1_S2_PS3_
                                        ; -- End function
	.set _ZN9rocsparseL46csr2bsr_nnz_wavefront_per_row_multipass_kernelILj256ELj64ELj8EilEEvT3_S1_S1_S1_S1_21rocsparse_index_base_PKT2_PKS1_S2_PS3_.num_vgpr, 36
	.set _ZN9rocsparseL46csr2bsr_nnz_wavefront_per_row_multipass_kernelILj256ELj64ELj8EilEEvT3_S1_S1_S1_S1_21rocsparse_index_base_PKT2_PKS1_S2_PS3_.num_agpr, 0
	.set _ZN9rocsparseL46csr2bsr_nnz_wavefront_per_row_multipass_kernelILj256ELj64ELj8EilEEvT3_S1_S1_S1_S1_21rocsparse_index_base_PKT2_PKS1_S2_PS3_.numbered_sgpr, 38
	.set _ZN9rocsparseL46csr2bsr_nnz_wavefront_per_row_multipass_kernelILj256ELj64ELj8EilEEvT3_S1_S1_S1_S1_21rocsparse_index_base_PKT2_PKS1_S2_PS3_.num_named_barrier, 0
	.set _ZN9rocsparseL46csr2bsr_nnz_wavefront_per_row_multipass_kernelILj256ELj64ELj8EilEEvT3_S1_S1_S1_S1_21rocsparse_index_base_PKT2_PKS1_S2_PS3_.private_seg_size, 0
	.set _ZN9rocsparseL46csr2bsr_nnz_wavefront_per_row_multipass_kernelILj256ELj64ELj8EilEEvT3_S1_S1_S1_S1_21rocsparse_index_base_PKT2_PKS1_S2_PS3_.uses_vcc, 1
	.set _ZN9rocsparseL46csr2bsr_nnz_wavefront_per_row_multipass_kernelILj256ELj64ELj8EilEEvT3_S1_S1_S1_S1_21rocsparse_index_base_PKT2_PKS1_S2_PS3_.uses_flat_scratch, 0
	.set _ZN9rocsparseL46csr2bsr_nnz_wavefront_per_row_multipass_kernelILj256ELj64ELj8EilEEvT3_S1_S1_S1_S1_21rocsparse_index_base_PKT2_PKS1_S2_PS3_.has_dyn_sized_stack, 0
	.set _ZN9rocsparseL46csr2bsr_nnz_wavefront_per_row_multipass_kernelILj256ELj64ELj8EilEEvT3_S1_S1_S1_S1_21rocsparse_index_base_PKT2_PKS1_S2_PS3_.has_recursion, 0
	.set _ZN9rocsparseL46csr2bsr_nnz_wavefront_per_row_multipass_kernelILj256ELj64ELj8EilEEvT3_S1_S1_S1_S1_21rocsparse_index_base_PKT2_PKS1_S2_PS3_.has_indirect_call, 0
	.section	.AMDGPU.csdata,"",@progbits
; Kernel info:
; codeLenInByte = 1912
; TotalNumSgprs: 40
; NumVgprs: 36
; ScratchSize: 0
; MemoryBound: 0
; FloatMode: 240
; IeeeMode: 1
; LDSByteSize: 40 bytes/workgroup (compile time only)
; SGPRBlocks: 0
; VGPRBlocks: 2
; NumSGPRsForWavesPerEU: 40
; NumVGPRsForWavesPerEU: 36
; NamedBarCnt: 0
; Occupancy: 16
; WaveLimiterHint : 0
; COMPUTE_PGM_RSRC2:SCRATCH_EN: 0
; COMPUTE_PGM_RSRC2:USER_SGPR: 2
; COMPUTE_PGM_RSRC2:TRAP_HANDLER: 0
; COMPUTE_PGM_RSRC2:TGID_X_EN: 1
; COMPUTE_PGM_RSRC2:TGID_Y_EN: 0
; COMPUTE_PGM_RSRC2:TGID_Z_EN: 0
; COMPUTE_PGM_RSRC2:TIDIG_COMP_CNT: 0
	.section	.text._ZN9rocsparseL46csr2bsr_nnz_wavefront_per_row_multipass_kernelILj256ELj32ELj8EilEEvT3_S1_S1_S1_S1_21rocsparse_index_base_PKT2_PKS1_S2_PS3_,"axG",@progbits,_ZN9rocsparseL46csr2bsr_nnz_wavefront_per_row_multipass_kernelILj256ELj32ELj8EilEEvT3_S1_S1_S1_S1_21rocsparse_index_base_PKT2_PKS1_S2_PS3_,comdat
	.globl	_ZN9rocsparseL46csr2bsr_nnz_wavefront_per_row_multipass_kernelILj256ELj32ELj8EilEEvT3_S1_S1_S1_S1_21rocsparse_index_base_PKT2_PKS1_S2_PS3_ ; -- Begin function _ZN9rocsparseL46csr2bsr_nnz_wavefront_per_row_multipass_kernelILj256ELj32ELj8EilEEvT3_S1_S1_S1_S1_21rocsparse_index_base_PKT2_PKS1_S2_PS3_
	.p2align	8
	.type	_ZN9rocsparseL46csr2bsr_nnz_wavefront_per_row_multipass_kernelILj256ELj32ELj8EilEEvT3_S1_S1_S1_S1_21rocsparse_index_base_PKT2_PKS1_S2_PS3_,@function
_ZN9rocsparseL46csr2bsr_nnz_wavefront_per_row_multipass_kernelILj256ELj32ELj8EilEEvT3_S1_S1_S1_S1_21rocsparse_index_base_PKT2_PKS1_S2_PS3_: ; @_ZN9rocsparseL46csr2bsr_nnz_wavefront_per_row_multipass_kernelILj256ELj32ELj8EilEEvT3_S1_S1_S1_S1_21rocsparse_index_base_PKT2_PKS1_S2_PS3_
; %bb.0:
	s_bfe_u32 s2, ttmp6, 0x4000c
	s_clause 0x1
	s_load_b96 s[8:10], s[0:1], 0x20
	s_load_b64 s[14:15], s[0:1], 0x30
	s_add_co_i32 s2, s2, 1
	s_and_b32 s3, ttmp6, 15
	s_mul_i32 s2, ttmp9, s2
	s_getreg_b32 s4, hwreg(HW_REG_IB_STS2, 6, 4)
	s_add_co_i32 s3, s3, s2
	s_cmp_eq_u32 s4, 0
	v_dual_mov_b32 v3, 0 :: v_dual_lshrrev_b32 v12, 5, v0
	s_cselect_b32 s12, ttmp9, s3
	v_bfe_u32 v2, v0, 2, 3
	s_ashr_i32 s13, s12, 31
	v_mov_b64_e32 v[6:7], 0
	s_lshl_b64 s[2:3], s[12:13], 3
	s_delay_alu instid0(SALU_CYCLE_1)
	v_dual_lshlrev_b32 v13, 3, v12 :: v_dual_bitop2_b32 v1, s2, v12 bitop3:0x54
	s_load_b128 s[4:7], s[0:1], 0x10
	ds_store_b64 v13, v[6:7]
	s_wait_kmcnt 0x0
	v_mad_nc_u64_u32 v[4:5], v1, s8, v[2:3]
	s_wait_dscnt 0x0
	s_barrier_signal -1
	s_barrier_wait -1
	s_delay_alu instid0(VALU_DEP_1) | instskip(SKIP_1) | instid1(VALU_DEP_1)
	v_mad_u32 v5, s3, s8, v5
	s_load_b64 s[2:3], s[0:1], 0x0
	v_mad_u32 v5, v1, s9, v5
	v_mov_b32_e32 v1, 0
	s_wait_kmcnt 0x0
	s_delay_alu instid0(VALU_DEP_2) | instskip(SKIP_2) | instid1(SALU_CYCLE_1)
	v_cmp_gt_i64_e32 vcc_lo, s[2:3], v[4:5]
	v_cmp_gt_i64_e64 s2, s[8:9], v[2:3]
	s_and_b32 s2, s2, vcc_lo
	s_and_saveexec_b32 s3, s2
	s_cbranch_execz .LBB26_2
; %bb.1:
	v_lshl_add_u64 v[6:7], v[4:5], 2, s[14:15]
	global_load_b32 v1, v[6:7], off
	s_wait_loadcnt 0x0
	v_subrev_nc_u32_e32 v1, s10, v1
.LBB26_2:
	s_or_b32 exec_lo, exec_lo, s3
	s_and_saveexec_b32 s3, s2
	s_cbranch_execz .LBB26_4
; %bb.3:
	v_lshl_add_u64 v[2:3], v[4:5], 2, s[14:15]
	global_load_b32 v2, v[2:3], off offset:4
	s_wait_loadcnt 0x0
	v_subrev_nc_u32_e32 v3, s10, v2
.LBB26_4:
	s_or_b32 exec_lo, exec_lo, s3
	v_cmp_lt_i64_e64 s2, s[6:7], 1
	v_and_b32_e32 v2, 31, v0
	s_and_b32 vcc_lo, exec_lo, s2
	s_delay_alu instid0(VALU_DEP_1)
	v_cmp_eq_u32_e64 s2, 0, v2
	s_cbranch_vccnz .LBB26_22
; %bb.5:
	v_mbcnt_lo_u32_b32 v4, -1, 0
	v_and_b32_e32 v14, 3, v0
	s_load_b64 s[14:15], s[0:1], 0x38
	v_mov_b32_e32 v22, 1
	s_mov_b32 s11, 0
	v_xor_b32_e32 v6, 16, v4
	v_xor_b32_e32 v5, 1, v4
	;; [unrolled: 1-line block ×4, first 2 shown]
	v_lshl_or_b32 v17, v4, 2, 12
	s_mov_b32 s16, s10
	s_mov_b32 s17, s11
	v_cmp_gt_i32_e32 vcc_lo, 32, v0
	s_mov_b64 s[18:19], 0xffffffff
	s_ashr_i32 s20, s9, 31
	s_sub_co_i32 s24, 0, s8
	s_mov_b32 s13, 0
	v_cndmask_b32_e32 v0, v4, v0, vcc_lo
	v_cmp_gt_i32_e32 vcc_lo, 32, v5
	v_mov_b32_e32 v21, 0x7c
	s_delay_alu instid0(VALU_DEP_3) | instskip(NEXT) | instid1(VALU_DEP_1)
	v_dual_lshlrev_b32 v15, 2, v0 :: v_dual_cndmask_b32 v5, v4, v5, vcc_lo
	v_lshlrev_b32_e32 v16, 2, v5
	v_cmp_gt_i32_e32 vcc_lo, 32, v6
	v_cndmask_b32_e32 v0, v4, v6, vcc_lo
	v_cmp_gt_i32_e32 vcc_lo, 32, v7
	v_xor_b32_e32 v8, 4, v4
	s_delay_alu instid0(VALU_DEP_3) | instskip(NEXT) | instid1(VALU_DEP_2)
	v_dual_lshlrev_b32 v18, 2, v0 :: v_dual_cndmask_b32 v6, v4, v7, vcc_lo
	v_cmp_gt_i32_e32 vcc_lo, 32, v8
	s_delay_alu instid0(VALU_DEP_2) | instskip(SKIP_1) | instid1(VALU_DEP_1)
	v_dual_mov_b32 v0, 0 :: v_dual_lshlrev_b32 v19, 2, v6
	v_cndmask_b32_e32 v7, v4, v8, vcc_lo
	v_lshlrev_b32_e32 v20, 2, v7
	v_mov_b64_e32 v[6:7], 0
	s_branch .LBB26_7
.LBB26_6:                               ;   in Loop: Header=BB26_7 Depth=1
	s_or_b32 exec_lo, exec_lo, s3
	ds_bpermute_b32 v6, v18, v4
	ds_bpermute_b32 v7, v18, v5
	s_wait_dscnt 0x0
	v_min_i64 v[4:5], v[6:7], v[4:5]
	ds_bpermute_b32 v6, v19, v4
	ds_bpermute_b32 v7, v19, v5
	s_wait_dscnt 0x0
	v_min_i64 v[4:5], v[6:7], v[4:5]
	;; [unrolled: 4-line block ×5, first 2 shown]
	ds_bpermute_b32 v6, v21, v4
	s_wait_dscnt 0x0
	v_ashrrev_i32_e32 v7, 31, v6
	s_delay_alu instid0(VALU_DEP_1) | instskip(SKIP_1) | instid1(SALU_CYCLE_1)
	v_cmp_le_i64_e32 vcc_lo, s[6:7], v[6:7]
	s_or_b32 s13, vcc_lo, s13
	s_and_not1_b32 exec_lo, exec_lo, s13
	s_cbranch_execz .LBB26_21
.LBB26_7:                               ; =>This Loop Header: Depth=1
                                        ;     Child Loop BB26_10 Depth 2
	v_mov_b64_e32 v[4:5], s[6:7]
	v_dual_add_nc_u32 v23, v1, v14 :: v_dual_mov_b32 v1, v3
	s_mov_b32 s25, exec_lo
	ds_store_b8 v12, v0 offset:64
	s_wait_dscnt 0x0
	v_cmpx_lt_i32_e64 v23, v3
	s_cbranch_execz .LBB26_19
; %bb.8:                                ;   in Loop: Header=BB26_7 Depth=1
	v_mov_b64_e32 v[4:5], s[6:7]
	v_mov_b32_e32 v24, v3
	s_mov_b32 s26, 0
	s_branch .LBB26_10
.LBB26_9:                               ;   in Loop: Header=BB26_10 Depth=2
	s_or_b32 exec_lo, exec_lo, s3
	s_delay_alu instid0(VALU_DEP_1) | instskip(SKIP_1) | instid1(VALU_DEP_1)
	v_dual_mov_b32 v24, v1 :: v_dual_add_nc_u32 v23, 4, v23
	s_xor_b32 s10, vcc_lo, -1
	v_cmp_ge_i32_e64 s3, v23, v3
	s_or_b32 s3, s10, s3
	s_delay_alu instid0(SALU_CYCLE_1) | instskip(NEXT) | instid1(SALU_CYCLE_1)
	s_and_b32 s3, exec_lo, s3
	s_or_b32 s26, s3, s26
	s_delay_alu instid0(SALU_CYCLE_1)
	s_and_not1_b32 exec_lo, exec_lo, s26
	s_cbranch_execz .LBB26_18
.LBB26_10:                              ;   Parent Loop BB26_7 Depth=1
                                        ; =>  This Inner Loop Header: Depth=2
	s_wait_kmcnt 0x0
	global_load_b64 v[8:9], v23, s[14:15] scale_offset
                                        ; implicit-def: $vgpr10_vgpr11
	s_mov_b32 s3, exec_lo
	s_wait_loadcnt 0x0
	v_sub_nc_u64_e64 v[8:9], v[8:9], s[16:17]
	s_delay_alu instid0(VALU_DEP_1) | instskip(SKIP_1) | instid1(VALU_DEP_1)
	v_or_b32_e32 v1, s9, v9
	s_wait_xcnt 0x0
	v_cmpx_ne_u64_e32 0, v[0:1]
	s_xor_b32 s27, exec_lo, s3
	s_cbranch_execz .LBB26_12
; %bb.11:                               ;   in Loop: Header=BB26_10 Depth=2
	s_mov_b32 s21, s20
	v_dual_mov_b32 v27, v0 :: v_dual_ashrrev_i32 v10, 31, v9
	s_add_nc_u64 s[22:23], s[8:9], s[20:21]
	s_delay_alu instid0(SALU_CYCLE_1) | instskip(NEXT) | instid1(VALU_DEP_1)
	s_xor_b64 s[22:23], s[22:23], s[20:21]
	v_mov_b32_e32 v11, v10
	s_cvt_f32_u32 s3, s22
	s_cvt_f32_u32 s10, s23
	s_sub_nc_u64 s[30:31], 0, s[22:23]
	s_delay_alu instid0(VALU_DEP_1) | instskip(NEXT) | instid1(SALU_CYCLE_1)
	v_add_nc_u64_e32 v[8:9], v[8:9], v[10:11]
	s_fmamk_f32 s3, s10, 0x4f800000, s3
	v_mov_b32_e32 v31, v0
	s_delay_alu instid0(SALU_CYCLE_2) | instskip(NEXT) | instid1(VALU_DEP_2)
	v_s_rcp_f32 s3, s3
	v_xor_b32_e32 v26, v8, v10
	s_delay_alu instid0(VALU_DEP_3) | instskip(NEXT) | instid1(TRANS32_DEP_1)
	v_dual_mov_b32 v35, v0 :: v_dual_bitop2_b32 v30, v9, v10 bitop3:0x14
	s_mul_f32 s3, s3, 0x5f7ffffc
	s_delay_alu instid0(SALU_CYCLE_3) | instskip(NEXT) | instid1(SALU_CYCLE_3)
	s_mul_f32 s10, s3, 0x2f800000
	s_trunc_f32 s10, s10
	s_delay_alu instid0(SALU_CYCLE_3) | instskip(SKIP_1) | instid1(SALU_CYCLE_2)
	s_fmamk_f32 s3, s10, 0xcf800000, s3
	s_cvt_u32_f32 s29, s10
	s_cvt_u32_f32 s28, s3
	s_delay_alu instid0(SALU_CYCLE_3) | instskip(NEXT) | instid1(SALU_CYCLE_1)
	s_mul_u64 s[34:35], s[30:31], s[28:29]
	s_mul_hi_u32 s37, s28, s35
	s_mul_i32 s36, s28, s35
	s_mul_hi_u32 s10, s28, s34
	s_mul_i32 s21, s29, s34
	s_add_nc_u64 s[36:37], s[10:11], s[36:37]
	s_mul_hi_u32 s3, s29, s34
	s_mul_hi_u32 s33, s29, s35
	s_add_co_u32 s10, s36, s21
	s_add_co_ci_u32 s10, s37, s3
	s_mul_i32 s34, s29, s35
	s_add_co_ci_u32 s35, s33, 0
	s_delay_alu instid0(SALU_CYCLE_1) | instskip(NEXT) | instid1(SALU_CYCLE_1)
	s_add_nc_u64 s[34:35], s[10:11], s[34:35]
	s_add_co_u32 s28, s28, s34
	s_cselect_b32 s3, -1, 0
	s_delay_alu instid0(SALU_CYCLE_1) | instskip(SKIP_1) | instid1(SALU_CYCLE_1)
	s_cmp_lg_u32 s3, 0
	s_add_co_ci_u32 s29, s29, s35
	s_mul_u64 s[30:31], s[30:31], s[28:29]
	s_delay_alu instid0(SALU_CYCLE_1)
	s_mul_hi_u32 s35, s28, s31
	s_mul_i32 s34, s28, s31
	s_mul_hi_u32 s10, s28, s30
	s_mul_i32 s21, s29, s30
	s_add_nc_u64 s[34:35], s[10:11], s[34:35]
	s_mul_hi_u32 s3, s29, s30
	s_mul_hi_u32 s33, s29, s31
	s_add_co_u32 s10, s34, s21
	s_add_co_ci_u32 s10, s35, s3
	s_mul_i32 s30, s29, s31
	s_add_co_ci_u32 s31, s33, 0
	s_delay_alu instid0(SALU_CYCLE_1) | instskip(NEXT) | instid1(SALU_CYCLE_1)
	s_add_nc_u64 s[30:31], s[10:11], s[30:31]
	s_add_co_u32 s28, s28, s30
	s_cselect_b32 s3, -1, 0
	v_mul_hi_u32 v34, v26, s28
	s_cmp_lg_u32 s3, 0
	s_add_co_ci_u32 s10, s29, s31
	s_and_b64 s[30:31], s[28:29], s[18:19]
	v_mul_u64_e32 v[28:29], s[10:11], v[26:27]
	v_mul_u64_e32 v[8:9], s[30:31], v[30:31]
	;; [unrolled: 1-line block ×3, first 2 shown]
	s_delay_alu instid0(VALU_DEP_3) | instskip(NEXT) | instid1(VALU_DEP_1)
	v_add_nc_u64_e32 v[28:29], v[34:35], v[28:29]
	v_add_co_u32 v1, vcc_lo, v28, v8
	s_delay_alu instid0(VALU_DEP_2) | instskip(NEXT) | instid1(VALU_DEP_4)
	v_add_co_ci_u32_e32 v34, vcc_lo, v29, v9, vcc_lo
	v_add_co_ci_u32_e32 v33, vcc_lo, 0, v33, vcc_lo
	s_delay_alu instid0(VALU_DEP_1) | instskip(NEXT) | instid1(VALU_DEP_1)
	v_add_nc_u64_e32 v[8:9], v[34:35], v[32:33]
	v_mul_u64_e32 v[28:29], s[22:23], v[8:9]
	s_delay_alu instid0(VALU_DEP_1) | instskip(NEXT) | instid1(VALU_DEP_2)
	v_sub_nc_u32_e32 v1, v30, v29
	v_sub_co_u32 v11, vcc_lo, v26, v28
	s_delay_alu instid0(VALU_DEP_1) | instskip(NEXT) | instid1(VALU_DEP_3)
	v_sub_co_ci_u32_e64 v30, null, v30, v29, vcc_lo
	v_subrev_co_ci_u32_e64 v1, null, s23, v1, vcc_lo
	s_delay_alu instid0(VALU_DEP_3) | instskip(SKIP_1) | instid1(VALU_DEP_3)
	v_sub_co_u32 v25, s3, v11, s22
	v_add_nc_u64_e32 v[28:29], 1, v[8:9]
	v_subrev_co_ci_u32_e64 v1, null, 0, v1, s3
	s_delay_alu instid0(VALU_DEP_3) | instskip(SKIP_1) | instid1(VALU_DEP_3)
	v_cmp_le_u32_e32 vcc_lo, s22, v25
	v_cndmask_b32_e64 v25, 0, -1, vcc_lo
	v_cmp_le_u32_e32 vcc_lo, s23, v1
	v_cndmask_b32_e64 v26, 0, -1, vcc_lo
	;; [unrolled: 2-line block ×4, first 2 shown]
	v_cmp_eq_u32_e32 vcc_lo, s23, v1
	v_cndmask_b32_e32 v1, v26, v25, vcc_lo
	v_cmp_eq_u32_e32 vcc_lo, s23, v30
	v_add_nc_u64_e32 v[26:27], 2, v[8:9]
	v_cndmask_b32_e32 v11, v31, v11, vcc_lo
	s_delay_alu instid0(VALU_DEP_4) | instskip(NEXT) | instid1(VALU_DEP_2)
	v_cmp_ne_u32_e32 vcc_lo, 0, v1
	v_cmp_ne_u32_e64 s3, 0, v11
	s_delay_alu instid0(VALU_DEP_4) | instskip(NEXT) | instid1(VALU_DEP_1)
	v_dual_cndmask_b32 v1, v29, v27, vcc_lo :: v_dual_cndmask_b32 v11, v28, v26, vcc_lo
	v_dual_cndmask_b32 v1, v9, v1, s3 :: v_dual_bitop2_b32 v10, s20, v10 bitop3:0x14
	s_delay_alu instid0(VALU_DEP_1) | instskip(NEXT) | instid1(VALU_DEP_2)
	v_dual_cndmask_b32 v8, v8, v11, s3 :: v_dual_mov_b32 v11, v10
	v_xor_b32_e32 v9, v1, v10
	s_delay_alu instid0(VALU_DEP_2) | instskip(NEXT) | instid1(VALU_DEP_1)
	v_xor_b32_e32 v8, v8, v10
	v_sub_nc_u64_e32 v[10:11], v[8:9], v[10:11]
                                        ; implicit-def: $vgpr8_vgpr9
.LBB26_12:                              ;   in Loop: Header=BB26_10 Depth=2
	s_and_not1_saveexec_b32 s3, s27
	s_cbranch_execz .LBB26_14
; %bb.13:                               ;   in Loop: Header=BB26_10 Depth=2
	v_cvt_f32_u32_e32 v1, s8
	v_mov_b32_e32 v11, v0
	s_delay_alu instid0(VALU_DEP_2) | instskip(SKIP_1) | instid1(TRANS32_DEP_1)
	v_rcp_iflag_f32_e32 v1, v1
	v_nop
	v_mul_f32_e32 v1, 0x4f7ffffe, v1
	s_delay_alu instid0(VALU_DEP_1) | instskip(NEXT) | instid1(VALU_DEP_1)
	v_cvt_u32_f32_e32 v1, v1
	v_mul_lo_u32 v9, s24, v1
	s_delay_alu instid0(VALU_DEP_1) | instskip(NEXT) | instid1(VALU_DEP_1)
	v_mul_hi_u32 v9, v1, v9
	v_add_nc_u32_e32 v1, v1, v9
	s_delay_alu instid0(VALU_DEP_1) | instskip(NEXT) | instid1(VALU_DEP_1)
	v_mul_hi_u32 v1, v8, v1
	v_mul_lo_u32 v9, v1, s8
	s_delay_alu instid0(VALU_DEP_1) | instskip(SKIP_1) | instid1(VALU_DEP_2)
	v_sub_nc_u32_e32 v8, v8, v9
	v_add_nc_u32_e32 v9, 1, v1
	v_subrev_nc_u32_e32 v10, s8, v8
	v_cmp_le_u32_e32 vcc_lo, s8, v8
	s_delay_alu instid0(VALU_DEP_2) | instskip(NEXT) | instid1(VALU_DEP_1)
	v_dual_cndmask_b32 v8, v8, v10 :: v_dual_cndmask_b32 v1, v1, v9
	v_cmp_le_u32_e32 vcc_lo, s8, v8
	s_delay_alu instid0(VALU_DEP_2) | instskip(NEXT) | instid1(VALU_DEP_1)
	v_add_nc_u32_e32 v9, 1, v1
	v_cndmask_b32_e32 v10, v1, v9, vcc_lo
.LBB26_14:                              ;   in Loop: Header=BB26_10 Depth=2
	s_or_b32 exec_lo, exec_lo, s3
	s_delay_alu instid0(VALU_DEP_1) | instskip(SKIP_2) | instid1(SALU_CYCLE_1)
	v_cmp_ne_u64_e64 s3, v[10:11], v[6:7]
	v_cmp_eq_u64_e32 vcc_lo, v[10:11], v[6:7]
	s_and_saveexec_b32 s10, s3
	s_xor_b32 s3, exec_lo, s10
; %bb.15:                               ;   in Loop: Header=BB26_10 Depth=2
	v_min_i64 v[4:5], v[10:11], v[4:5]
                                        ; implicit-def: $vgpr24
; %bb.16:                               ;   in Loop: Header=BB26_10 Depth=2
	s_or_saveexec_b32 s3, s3
	v_mov_b32_e32 v1, v23
	s_xor_b32 exec_lo, exec_lo, s3
	s_cbranch_execz .LBB26_9
; %bb.17:                               ;   in Loop: Header=BB26_10 Depth=2
	v_mov_b32_e32 v1, v24
	ds_store_b8 v12, v22 offset:64
	s_branch .LBB26_9
.LBB26_18:                              ;   in Loop: Header=BB26_7 Depth=1
	s_or_b32 exec_lo, exec_lo, s26
.LBB26_19:                              ;   in Loop: Header=BB26_7 Depth=1
	s_delay_alu instid0(SALU_CYCLE_1)
	s_or_b32 exec_lo, exec_lo, s25
	ds_bpermute_b32 v6, v15, v1
	s_wait_dscnt 0x0
	ds_load_u8 v7, v12 offset:64
	v_min_i32_e32 v1, v6, v1
	ds_bpermute_b32 v6, v16, v1
	s_wait_dscnt 0x0
	v_min_i32_e32 v1, v6, v1
	v_and_b32_e32 v6, 1, v7
	ds_bpermute_b32 v1, v17, v1
	v_cmp_eq_u32_e32 vcc_lo, 1, v6
	s_and_b32 s10, s2, vcc_lo
	s_delay_alu instid0(SALU_CYCLE_1)
	s_and_saveexec_b32 s3, s10
	s_cbranch_execz .LBB26_6
; %bb.20:                               ;   in Loop: Header=BB26_7 Depth=1
	ds_load_b64 v[6:7], v13
	s_wait_dscnt 0x0
	v_add_nc_u64_e32 v[6:7], 1, v[6:7]
	ds_store_b64 v13, v[6:7]
	s_branch .LBB26_6
.LBB26_21:
	s_or_b32 exec_lo, exec_lo, s13
.LBB26_22:
	s_delay_alu instid0(SALU_CYCLE_1)
	s_mov_b32 s2, exec_lo
	v_cmpx_eq_u32_e32 0, v2
	s_cbranch_execz .LBB26_25
; %bb.23:
	s_clause 0x1
	s_load_b32 s6, s[0:1], 0x40
	s_load_b64 s[2:3], s[0:1], 0x48
	v_mov_b32_e32 v1, 0
	v_lshl_or_b32 v0, s12, 3, v12
	s_wait_kmcnt 0x0
	v_mov_b32_e32 v2, s6
	s_delay_alu instid0(VALU_DEP_2)
	v_cmp_gt_i64_e32 vcc_lo, s[4:5], v[0:1]
	global_store_b32 v1, v2, s[2:3]
	s_wait_xcnt 0x0
	s_and_b32 exec_lo, exec_lo, vcc_lo
	s_cbranch_execz .LBB26_25
; %bb.24:
	ds_load_b32 v1, v13
	v_add_nc_u32_e32 v0, 1, v0
	s_wait_dscnt 0x0
	global_store_b32 v0, v1, s[2:3] scale_offset
.LBB26_25:
	s_endpgm
	.section	.rodata,"a",@progbits
	.p2align	6, 0x0
	.amdhsa_kernel _ZN9rocsparseL46csr2bsr_nnz_wavefront_per_row_multipass_kernelILj256ELj32ELj8EilEEvT3_S1_S1_S1_S1_21rocsparse_index_base_PKT2_PKS1_S2_PS3_
		.amdhsa_group_segment_fixed_size 72
		.amdhsa_private_segment_fixed_size 0
		.amdhsa_kernarg_size 80
		.amdhsa_user_sgpr_count 2
		.amdhsa_user_sgpr_dispatch_ptr 0
		.amdhsa_user_sgpr_queue_ptr 0
		.amdhsa_user_sgpr_kernarg_segment_ptr 1
		.amdhsa_user_sgpr_dispatch_id 0
		.amdhsa_user_sgpr_kernarg_preload_length 0
		.amdhsa_user_sgpr_kernarg_preload_offset 0
		.amdhsa_user_sgpr_private_segment_size 0
		.amdhsa_wavefront_size32 1
		.amdhsa_uses_dynamic_stack 0
		.amdhsa_enable_private_segment 0
		.amdhsa_system_sgpr_workgroup_id_x 1
		.amdhsa_system_sgpr_workgroup_id_y 0
		.amdhsa_system_sgpr_workgroup_id_z 0
		.amdhsa_system_sgpr_workgroup_info 0
		.amdhsa_system_vgpr_workitem_id 0
		.amdhsa_next_free_vgpr 36
		.amdhsa_next_free_sgpr 38
		.amdhsa_named_barrier_count 0
		.amdhsa_reserve_vcc 1
		.amdhsa_float_round_mode_32 0
		.amdhsa_float_round_mode_16_64 0
		.amdhsa_float_denorm_mode_32 3
		.amdhsa_float_denorm_mode_16_64 3
		.amdhsa_fp16_overflow 0
		.amdhsa_memory_ordered 1
		.amdhsa_forward_progress 1
		.amdhsa_inst_pref_size 15
		.amdhsa_round_robin_scheduling 0
		.amdhsa_exception_fp_ieee_invalid_op 0
		.amdhsa_exception_fp_denorm_src 0
		.amdhsa_exception_fp_ieee_div_zero 0
		.amdhsa_exception_fp_ieee_overflow 0
		.amdhsa_exception_fp_ieee_underflow 0
		.amdhsa_exception_fp_ieee_inexact 0
		.amdhsa_exception_int_div_zero 0
	.end_amdhsa_kernel
	.section	.text._ZN9rocsparseL46csr2bsr_nnz_wavefront_per_row_multipass_kernelILj256ELj32ELj8EilEEvT3_S1_S1_S1_S1_21rocsparse_index_base_PKT2_PKS1_S2_PS3_,"axG",@progbits,_ZN9rocsparseL46csr2bsr_nnz_wavefront_per_row_multipass_kernelILj256ELj32ELj8EilEEvT3_S1_S1_S1_S1_21rocsparse_index_base_PKT2_PKS1_S2_PS3_,comdat
.Lfunc_end26:
	.size	_ZN9rocsparseL46csr2bsr_nnz_wavefront_per_row_multipass_kernelILj256ELj32ELj8EilEEvT3_S1_S1_S1_S1_21rocsparse_index_base_PKT2_PKS1_S2_PS3_, .Lfunc_end26-_ZN9rocsparseL46csr2bsr_nnz_wavefront_per_row_multipass_kernelILj256ELj32ELj8EilEEvT3_S1_S1_S1_S1_21rocsparse_index_base_PKT2_PKS1_S2_PS3_
                                        ; -- End function
	.set _ZN9rocsparseL46csr2bsr_nnz_wavefront_per_row_multipass_kernelILj256ELj32ELj8EilEEvT3_S1_S1_S1_S1_21rocsparse_index_base_PKT2_PKS1_S2_PS3_.num_vgpr, 36
	.set _ZN9rocsparseL46csr2bsr_nnz_wavefront_per_row_multipass_kernelILj256ELj32ELj8EilEEvT3_S1_S1_S1_S1_21rocsparse_index_base_PKT2_PKS1_S2_PS3_.num_agpr, 0
	.set _ZN9rocsparseL46csr2bsr_nnz_wavefront_per_row_multipass_kernelILj256ELj32ELj8EilEEvT3_S1_S1_S1_S1_21rocsparse_index_base_PKT2_PKS1_S2_PS3_.numbered_sgpr, 38
	.set _ZN9rocsparseL46csr2bsr_nnz_wavefront_per_row_multipass_kernelILj256ELj32ELj8EilEEvT3_S1_S1_S1_S1_21rocsparse_index_base_PKT2_PKS1_S2_PS3_.num_named_barrier, 0
	.set _ZN9rocsparseL46csr2bsr_nnz_wavefront_per_row_multipass_kernelILj256ELj32ELj8EilEEvT3_S1_S1_S1_S1_21rocsparse_index_base_PKT2_PKS1_S2_PS3_.private_seg_size, 0
	.set _ZN9rocsparseL46csr2bsr_nnz_wavefront_per_row_multipass_kernelILj256ELj32ELj8EilEEvT3_S1_S1_S1_S1_21rocsparse_index_base_PKT2_PKS1_S2_PS3_.uses_vcc, 1
	.set _ZN9rocsparseL46csr2bsr_nnz_wavefront_per_row_multipass_kernelILj256ELj32ELj8EilEEvT3_S1_S1_S1_S1_21rocsparse_index_base_PKT2_PKS1_S2_PS3_.uses_flat_scratch, 0
	.set _ZN9rocsparseL46csr2bsr_nnz_wavefront_per_row_multipass_kernelILj256ELj32ELj8EilEEvT3_S1_S1_S1_S1_21rocsparse_index_base_PKT2_PKS1_S2_PS3_.has_dyn_sized_stack, 0
	.set _ZN9rocsparseL46csr2bsr_nnz_wavefront_per_row_multipass_kernelILj256ELj32ELj8EilEEvT3_S1_S1_S1_S1_21rocsparse_index_base_PKT2_PKS1_S2_PS3_.has_recursion, 0
	.set _ZN9rocsparseL46csr2bsr_nnz_wavefront_per_row_multipass_kernelILj256ELj32ELj8EilEEvT3_S1_S1_S1_S1_21rocsparse_index_base_PKT2_PKS1_S2_PS3_.has_indirect_call, 0
	.section	.AMDGPU.csdata,"",@progbits
; Kernel info:
; codeLenInByte = 1848
; TotalNumSgprs: 40
; NumVgprs: 36
; ScratchSize: 0
; MemoryBound: 0
; FloatMode: 240
; IeeeMode: 1
; LDSByteSize: 72 bytes/workgroup (compile time only)
; SGPRBlocks: 0
; VGPRBlocks: 2
; NumSGPRsForWavesPerEU: 40
; NumVGPRsForWavesPerEU: 36
; NamedBarCnt: 0
; Occupancy: 16
; WaveLimiterHint : 0
; COMPUTE_PGM_RSRC2:SCRATCH_EN: 0
; COMPUTE_PGM_RSRC2:USER_SGPR: 2
; COMPUTE_PGM_RSRC2:TRAP_HANDLER: 0
; COMPUTE_PGM_RSRC2:TGID_X_EN: 1
; COMPUTE_PGM_RSRC2:TGID_Y_EN: 0
; COMPUTE_PGM_RSRC2:TGID_Z_EN: 0
; COMPUTE_PGM_RSRC2:TIDIG_COMP_CNT: 0
	.section	.text._ZN9rocsparseL46csr2bsr_nnz_wavefront_per_row_multipass_kernelILj256ELj64ELj16EilEEvT3_S1_S1_S1_S1_21rocsparse_index_base_PKT2_PKS1_S2_PS3_,"axG",@progbits,_ZN9rocsparseL46csr2bsr_nnz_wavefront_per_row_multipass_kernelILj256ELj64ELj16EilEEvT3_S1_S1_S1_S1_21rocsparse_index_base_PKT2_PKS1_S2_PS3_,comdat
	.globl	_ZN9rocsparseL46csr2bsr_nnz_wavefront_per_row_multipass_kernelILj256ELj64ELj16EilEEvT3_S1_S1_S1_S1_21rocsparse_index_base_PKT2_PKS1_S2_PS3_ ; -- Begin function _ZN9rocsparseL46csr2bsr_nnz_wavefront_per_row_multipass_kernelILj256ELj64ELj16EilEEvT3_S1_S1_S1_S1_21rocsparse_index_base_PKT2_PKS1_S2_PS3_
	.p2align	8
	.type	_ZN9rocsparseL46csr2bsr_nnz_wavefront_per_row_multipass_kernelILj256ELj64ELj16EilEEvT3_S1_S1_S1_S1_21rocsparse_index_base_PKT2_PKS1_S2_PS3_,@function
_ZN9rocsparseL46csr2bsr_nnz_wavefront_per_row_multipass_kernelILj256ELj64ELj16EilEEvT3_S1_S1_S1_S1_21rocsparse_index_base_PKT2_PKS1_S2_PS3_: ; @_ZN9rocsparseL46csr2bsr_nnz_wavefront_per_row_multipass_kernelILj256ELj64ELj16EilEEvT3_S1_S1_S1_S1_21rocsparse_index_base_PKT2_PKS1_S2_PS3_
; %bb.0:
	s_bfe_u32 s2, ttmp6, 0x4000c
	s_clause 0x1
	s_load_b96 s[8:10], s[0:1], 0x20
	s_load_b64 s[14:15], s[0:1], 0x30
	s_add_co_i32 s2, s2, 1
	s_and_b32 s3, ttmp6, 15
	s_mul_i32 s2, ttmp9, s2
	s_getreg_b32 s4, hwreg(HW_REG_IB_STS2, 6, 4)
	s_add_co_i32 s3, s3, s2
	s_cmp_eq_u32 s4, 0
	v_dual_mov_b32 v3, 0 :: v_dual_lshrrev_b32 v12, 6, v0
	s_cselect_b32 s12, ttmp9, s3
	v_bfe_u32 v2, v0, 2, 4
	s_ashr_i32 s13, s12, 31
	v_mov_b64_e32 v[6:7], 0
	s_lshl_b64 s[2:3], s[12:13], 2
	s_delay_alu instid0(SALU_CYCLE_1)
	v_dual_lshlrev_b32 v13, 3, v12 :: v_dual_bitop2_b32 v1, s2, v12 bitop3:0x54
	s_load_b128 s[4:7], s[0:1], 0x10
	ds_store_b64 v13, v[6:7]
	s_wait_kmcnt 0x0
	v_mad_nc_u64_u32 v[4:5], v1, s8, v[2:3]
	s_wait_dscnt 0x0
	s_barrier_signal -1
	s_barrier_wait -1
	s_delay_alu instid0(VALU_DEP_1) | instskip(SKIP_1) | instid1(VALU_DEP_1)
	v_mad_u32 v5, s3, s8, v5
	s_load_b64 s[2:3], s[0:1], 0x0
	v_mad_u32 v5, v1, s9, v5
	v_mov_b32_e32 v1, 0
	s_wait_kmcnt 0x0
	s_delay_alu instid0(VALU_DEP_2) | instskip(SKIP_2) | instid1(SALU_CYCLE_1)
	v_cmp_gt_i64_e32 vcc_lo, s[2:3], v[4:5]
	v_cmp_gt_i64_e64 s2, s[8:9], v[2:3]
	s_and_b32 s2, s2, vcc_lo
	s_and_saveexec_b32 s3, s2
	s_cbranch_execz .LBB27_2
; %bb.1:
	v_lshl_add_u64 v[6:7], v[4:5], 2, s[14:15]
	global_load_b32 v1, v[6:7], off
	s_wait_loadcnt 0x0
	v_subrev_nc_u32_e32 v1, s10, v1
.LBB27_2:
	s_or_b32 exec_lo, exec_lo, s3
	s_and_saveexec_b32 s3, s2
	s_cbranch_execz .LBB27_4
; %bb.3:
	v_lshl_add_u64 v[2:3], v[4:5], 2, s[14:15]
	global_load_b32 v2, v[2:3], off offset:4
	s_wait_loadcnt 0x0
	v_subrev_nc_u32_e32 v3, s10, v2
.LBB27_4:
	s_or_b32 exec_lo, exec_lo, s3
	v_cmp_lt_i64_e64 s2, s[6:7], 1
	v_and_b32_e32 v2, 63, v0
	s_and_b32 vcc_lo, exec_lo, s2
	s_delay_alu instid0(VALU_DEP_1)
	v_cmp_eq_u32_e64 s2, 0, v2
	s_cbranch_vccnz .LBB27_22
; %bb.5:
	v_mbcnt_lo_u32_b32 v4, -1, 0
	s_load_b64 s[14:15], s[0:1], 0x38
	v_bfrev_b32_e32 v22, 0.5
	v_mov_b32_e32 v23, 1
	s_mov_b32 s11, 0
	v_xor_b32_e32 v7, 16, v4
	v_xor_b32_e32 v5, 2, v4
	v_or_b32_e32 v6, 32, v4
	v_lshl_or_b32 v17, v4, 2, 12
	s_mov_b32 s16, s10
	s_mov_b32 s17, s11
	v_cmp_gt_i32_e32 vcc_lo, 32, v5
	v_and_b32_e32 v14, 3, v0
	s_mov_b64 s[18:19], 0xffffffff
	s_ashr_i32 s20, s9, 31
	s_sub_co_i32 s24, 0, s8
	v_dual_cndmask_b32 v5, v4, v5, vcc_lo :: v_dual_bitop2_b32 v0, 1, v4 bitop3:0x14
	s_mov_b32 s13, 0
	s_delay_alu instid0(VALU_DEP_1) | instskip(NEXT) | instid1(VALU_DEP_2)
	v_lshlrev_b32_e32 v15, 2, v5
	v_cmp_gt_i32_e32 vcc_lo, 32, v0
	v_cndmask_b32_e32 v0, v4, v0, vcc_lo
	v_cmp_gt_i32_e32 vcc_lo, 32, v6
	v_cndmask_b32_e32 v5, v4, v6, vcc_lo
	v_cmp_gt_i32_e32 vcc_lo, 32, v7
	s_delay_alu instid0(VALU_DEP_4) | instskip(NEXT) | instid1(VALU_DEP_3)
	v_lshlrev_b32_e32 v16, 2, v0
	v_dual_lshlrev_b32 v18, 2, v5 :: v_dual_bitop2_b32 v6, 4, v4 bitop3:0x14
	v_dual_cndmask_b32 v7, v4, v7, vcc_lo :: v_dual_bitop2_b32 v0, 8, v4 bitop3:0x14
	s_delay_alu instid0(VALU_DEP_1) | instskip(NEXT) | instid1(VALU_DEP_2)
	v_lshlrev_b32_e32 v19, 2, v7
	v_cmp_gt_i32_e32 vcc_lo, 32, v0
	v_cndmask_b32_e32 v0, v4, v0, vcc_lo
	s_delay_alu instid0(VALU_DEP_1) | instskip(SKIP_2) | instid1(VALU_DEP_1)
	v_dual_lshlrev_b32 v20, 2, v0 :: v_dual_mov_b32 v0, 0
	v_cmp_gt_i32_e32 vcc_lo, 32, v6
	v_cndmask_b32_e32 v6, v4, v6, vcc_lo
	v_lshlrev_b32_e32 v21, 2, v6
	v_mov_b64_e32 v[6:7], 0
	s_branch .LBB27_7
.LBB27_6:                               ;   in Loop: Header=BB27_7 Depth=1
	s_or_b32 exec_lo, exec_lo, s3
	ds_bpermute_b32 v6, v18, v4
	ds_bpermute_b32 v7, v18, v5
	s_wait_dscnt 0x0
	v_min_i64 v[4:5], v[6:7], v[4:5]
	ds_bpermute_b32 v6, v19, v4
	ds_bpermute_b32 v7, v19, v5
	s_wait_dscnt 0x0
	v_min_i64 v[4:5], v[6:7], v[4:5]
	;; [unrolled: 4-line block ×6, first 2 shown]
	ds_bpermute_b32 v6, v22, v4
	s_wait_dscnt 0x0
	v_ashrrev_i32_e32 v7, 31, v6
	s_delay_alu instid0(VALU_DEP_1) | instskip(SKIP_1) | instid1(SALU_CYCLE_1)
	v_cmp_le_i64_e32 vcc_lo, s[6:7], v[6:7]
	s_or_b32 s13, vcc_lo, s13
	s_and_not1_b32 exec_lo, exec_lo, s13
	s_cbranch_execz .LBB27_21
.LBB27_7:                               ; =>This Loop Header: Depth=1
                                        ;     Child Loop BB27_10 Depth 2
	v_mov_b64_e32 v[4:5], s[6:7]
	v_dual_mov_b32 v1, v3 :: v_dual_add_nc_u32 v24, v1, v14
	s_mov_b32 s25, exec_lo
	ds_store_b8 v12, v0 offset:32
	s_wait_dscnt 0x0
	v_cmpx_lt_i32_e64 v24, v3
	s_cbranch_execz .LBB27_19
; %bb.8:                                ;   in Loop: Header=BB27_7 Depth=1
	v_mov_b64_e32 v[4:5], s[6:7]
	v_mov_b32_e32 v25, v3
	s_mov_b32 s26, 0
	s_branch .LBB27_10
.LBB27_9:                               ;   in Loop: Header=BB27_10 Depth=2
	s_or_b32 exec_lo, exec_lo, s3
	s_delay_alu instid0(VALU_DEP_1) | instskip(SKIP_1) | instid1(VALU_DEP_1)
	v_dual_mov_b32 v25, v1 :: v_dual_add_nc_u32 v24, 4, v24
	s_xor_b32 s10, vcc_lo, -1
	v_cmp_ge_i32_e64 s3, v24, v3
	s_or_b32 s3, s10, s3
	s_delay_alu instid0(SALU_CYCLE_1) | instskip(NEXT) | instid1(SALU_CYCLE_1)
	s_and_b32 s3, exec_lo, s3
	s_or_b32 s26, s3, s26
	s_delay_alu instid0(SALU_CYCLE_1)
	s_and_not1_b32 exec_lo, exec_lo, s26
	s_cbranch_execz .LBB27_18
.LBB27_10:                              ;   Parent Loop BB27_7 Depth=1
                                        ; =>  This Inner Loop Header: Depth=2
	s_wait_kmcnt 0x0
	global_load_b64 v[8:9], v24, s[14:15] scale_offset
                                        ; implicit-def: $vgpr10_vgpr11
	s_mov_b32 s3, exec_lo
	s_wait_loadcnt 0x0
	v_sub_nc_u64_e64 v[8:9], v[8:9], s[16:17]
	s_delay_alu instid0(VALU_DEP_1) | instskip(SKIP_1) | instid1(VALU_DEP_1)
	v_or_b32_e32 v1, s9, v9
	s_wait_xcnt 0x0
	v_cmpx_ne_u64_e32 0, v[0:1]
	s_xor_b32 s27, exec_lo, s3
	s_cbranch_execz .LBB27_12
; %bb.11:                               ;   in Loop: Header=BB27_10 Depth=2
	s_mov_b32 s21, s20
	v_dual_mov_b32 v27, v0 :: v_dual_ashrrev_i32 v10, 31, v9
	s_add_nc_u64 s[22:23], s[8:9], s[20:21]
	s_delay_alu instid0(SALU_CYCLE_1) | instskip(NEXT) | instid1(VALU_DEP_1)
	s_xor_b64 s[22:23], s[22:23], s[20:21]
	v_mov_b32_e32 v11, v10
	s_cvt_f32_u32 s3, s22
	s_cvt_f32_u32 s10, s23
	s_sub_nc_u64 s[30:31], 0, s[22:23]
	s_delay_alu instid0(VALU_DEP_1) | instskip(NEXT) | instid1(SALU_CYCLE_1)
	v_add_nc_u64_e32 v[8:9], v[8:9], v[10:11]
	s_fmamk_f32 s3, s10, 0x4f800000, s3
	v_mov_b32_e32 v31, v0
	s_delay_alu instid0(SALU_CYCLE_2) | instskip(NEXT) | instid1(VALU_DEP_2)
	v_s_rcp_f32 s3, s3
	v_xor_b32_e32 v26, v8, v10
	s_delay_alu instid0(VALU_DEP_3) | instskip(SKIP_1) | instid1(TRANS32_DEP_1)
	v_dual_mov_b32 v35, v0 :: v_dual_bitop2_b32 v30, v9, v10 bitop3:0x14
	v_xor_b32_e32 v10, s20, v10
	s_mul_f32 s3, s3, 0x5f7ffffc
	s_delay_alu instid0(SALU_CYCLE_3) | instskip(NEXT) | instid1(SALU_CYCLE_3)
	s_mul_f32 s10, s3, 0x2f800000
	s_trunc_f32 s10, s10
	s_delay_alu instid0(SALU_CYCLE_3) | instskip(SKIP_1) | instid1(SALU_CYCLE_2)
	s_fmamk_f32 s3, s10, 0xcf800000, s3
	s_cvt_u32_f32 s29, s10
	s_cvt_u32_f32 s28, s3
	s_delay_alu instid0(SALU_CYCLE_3) | instskip(NEXT) | instid1(SALU_CYCLE_1)
	s_mul_u64 s[34:35], s[30:31], s[28:29]
	s_mul_hi_u32 s37, s28, s35
	s_mul_i32 s36, s28, s35
	s_mul_hi_u32 s10, s28, s34
	s_mul_i32 s21, s29, s34
	s_add_nc_u64 s[36:37], s[10:11], s[36:37]
	s_mul_hi_u32 s3, s29, s34
	s_mul_hi_u32 s33, s29, s35
	s_add_co_u32 s10, s36, s21
	s_add_co_ci_u32 s10, s37, s3
	s_mul_i32 s34, s29, s35
	s_add_co_ci_u32 s35, s33, 0
	s_delay_alu instid0(SALU_CYCLE_1) | instskip(NEXT) | instid1(SALU_CYCLE_1)
	s_add_nc_u64 s[34:35], s[10:11], s[34:35]
	s_add_co_u32 s28, s28, s34
	s_cselect_b32 s3, -1, 0
	s_delay_alu instid0(SALU_CYCLE_1) | instskip(SKIP_1) | instid1(SALU_CYCLE_1)
	s_cmp_lg_u32 s3, 0
	s_add_co_ci_u32 s29, s29, s35
	s_mul_u64 s[30:31], s[30:31], s[28:29]
	s_delay_alu instid0(SALU_CYCLE_1)
	s_mul_hi_u32 s35, s28, s31
	s_mul_i32 s34, s28, s31
	s_mul_hi_u32 s10, s28, s30
	s_mul_i32 s21, s29, s30
	s_add_nc_u64 s[34:35], s[10:11], s[34:35]
	s_mul_hi_u32 s3, s29, s30
	s_mul_hi_u32 s33, s29, s31
	s_add_co_u32 s10, s34, s21
	s_add_co_ci_u32 s10, s35, s3
	s_mul_i32 s30, s29, s31
	s_add_co_ci_u32 s31, s33, 0
	s_delay_alu instid0(SALU_CYCLE_1) | instskip(NEXT) | instid1(SALU_CYCLE_1)
	s_add_nc_u64 s[30:31], s[10:11], s[30:31]
	s_add_co_u32 s28, s28, s30
	s_cselect_b32 s3, -1, 0
	v_mul_hi_u32 v34, v26, s28
	s_cmp_lg_u32 s3, 0
	s_add_co_ci_u32 s10, s29, s31
	s_and_b64 s[30:31], s[28:29], s[18:19]
	v_mul_u64_e32 v[28:29], s[10:11], v[26:27]
	v_mul_u64_e32 v[8:9], s[30:31], v[30:31]
	;; [unrolled: 1-line block ×3, first 2 shown]
	s_delay_alu instid0(VALU_DEP_3) | instskip(NEXT) | instid1(VALU_DEP_1)
	v_add_nc_u64_e32 v[28:29], v[34:35], v[28:29]
	v_add_co_u32 v1, vcc_lo, v28, v8
	s_delay_alu instid0(VALU_DEP_2) | instskip(NEXT) | instid1(VALU_DEP_4)
	v_add_co_ci_u32_e32 v34, vcc_lo, v29, v9, vcc_lo
	v_add_co_ci_u32_e32 v33, vcc_lo, 0, v33, vcc_lo
	s_delay_alu instid0(VALU_DEP_1) | instskip(NEXT) | instid1(VALU_DEP_1)
	v_add_nc_u64_e32 v[8:9], v[34:35], v[32:33]
	v_mul_u64_e32 v[28:29], s[22:23], v[8:9]
	s_delay_alu instid0(VALU_DEP_1) | instskip(NEXT) | instid1(VALU_DEP_2)
	v_sub_nc_u32_e32 v1, v30, v29
	v_sub_co_u32 v11, vcc_lo, v26, v28
	s_delay_alu instid0(VALU_DEP_1) | instskip(NEXT) | instid1(VALU_DEP_3)
	v_sub_co_ci_u32_e64 v30, null, v30, v29, vcc_lo
	v_subrev_co_ci_u32_e64 v1, null, s23, v1, vcc_lo
	s_delay_alu instid0(VALU_DEP_3) | instskip(SKIP_1) | instid1(VALU_DEP_3)
	v_sub_co_u32 v26, s3, v11, s22
	v_add_nc_u64_e32 v[28:29], 1, v[8:9]
	v_subrev_co_ci_u32_e64 v1, null, 0, v1, s3
	s_delay_alu instid0(VALU_DEP_3) | instskip(SKIP_1) | instid1(VALU_DEP_3)
	v_cmp_le_u32_e32 vcc_lo, s22, v26
	v_cndmask_b32_e64 v26, 0, -1, vcc_lo
	v_cmp_le_u32_e32 vcc_lo, s23, v1
	v_cndmask_b32_e64 v27, 0, -1, vcc_lo
	;; [unrolled: 2-line block ×4, first 2 shown]
	v_cmp_eq_u32_e32 vcc_lo, s23, v1
	v_cndmask_b32_e32 v1, v27, v26, vcc_lo
	v_cmp_eq_u32_e32 vcc_lo, s23, v30
	v_add_nc_u64_e32 v[26:27], 2, v[8:9]
	v_cndmask_b32_e32 v11, v31, v11, vcc_lo
	s_delay_alu instid0(VALU_DEP_4) | instskip(NEXT) | instid1(VALU_DEP_2)
	v_cmp_ne_u32_e32 vcc_lo, 0, v1
	v_cmp_ne_u32_e64 s3, 0, v11
	s_delay_alu instid0(VALU_DEP_4) | instskip(NEXT) | instid1(VALU_DEP_1)
	v_dual_cndmask_b32 v1, v29, v27, vcc_lo :: v_dual_cndmask_b32 v11, v28, v26, vcc_lo
	v_dual_cndmask_b32 v8, v8, v11, s3 :: v_dual_mov_b32 v11, v10
	s_delay_alu instid0(VALU_DEP_1) | instskip(NEXT) | instid1(VALU_DEP_1)
	v_dual_cndmask_b32 v1, v9, v1, s3 :: v_dual_bitop2_b32 v8, v8, v10 bitop3:0x14
	v_xor_b32_e32 v9, v1, v10
	s_delay_alu instid0(VALU_DEP_1)
	v_sub_nc_u64_e32 v[10:11], v[8:9], v[10:11]
                                        ; implicit-def: $vgpr8_vgpr9
.LBB27_12:                              ;   in Loop: Header=BB27_10 Depth=2
	s_and_not1_saveexec_b32 s3, s27
	s_cbranch_execz .LBB27_14
; %bb.13:                               ;   in Loop: Header=BB27_10 Depth=2
	v_cvt_f32_u32_e32 v1, s8
	v_mov_b32_e32 v11, v0
	s_delay_alu instid0(VALU_DEP_2) | instskip(SKIP_1) | instid1(TRANS32_DEP_1)
	v_rcp_iflag_f32_e32 v1, v1
	v_nop
	v_mul_f32_e32 v1, 0x4f7ffffe, v1
	s_delay_alu instid0(VALU_DEP_1) | instskip(NEXT) | instid1(VALU_DEP_1)
	v_cvt_u32_f32_e32 v1, v1
	v_mul_lo_u32 v9, s24, v1
	s_delay_alu instid0(VALU_DEP_1) | instskip(NEXT) | instid1(VALU_DEP_1)
	v_mul_hi_u32 v9, v1, v9
	v_add_nc_u32_e32 v1, v1, v9
	s_delay_alu instid0(VALU_DEP_1) | instskip(NEXT) | instid1(VALU_DEP_1)
	v_mul_hi_u32 v1, v8, v1
	v_mul_lo_u32 v9, v1, s8
	s_delay_alu instid0(VALU_DEP_1) | instskip(SKIP_1) | instid1(VALU_DEP_2)
	v_sub_nc_u32_e32 v8, v8, v9
	v_add_nc_u32_e32 v9, 1, v1
	v_subrev_nc_u32_e32 v10, s8, v8
	v_cmp_le_u32_e32 vcc_lo, s8, v8
	s_delay_alu instid0(VALU_DEP_2) | instskip(NEXT) | instid1(VALU_DEP_1)
	v_dual_cndmask_b32 v8, v8, v10 :: v_dual_cndmask_b32 v1, v1, v9
	v_cmp_le_u32_e32 vcc_lo, s8, v8
	s_delay_alu instid0(VALU_DEP_2) | instskip(NEXT) | instid1(VALU_DEP_1)
	v_add_nc_u32_e32 v9, 1, v1
	v_cndmask_b32_e32 v10, v1, v9, vcc_lo
.LBB27_14:                              ;   in Loop: Header=BB27_10 Depth=2
	s_or_b32 exec_lo, exec_lo, s3
	s_delay_alu instid0(VALU_DEP_1) | instskip(SKIP_2) | instid1(SALU_CYCLE_1)
	v_cmp_ne_u64_e64 s3, v[10:11], v[6:7]
	v_cmp_eq_u64_e32 vcc_lo, v[10:11], v[6:7]
	s_and_saveexec_b32 s10, s3
	s_xor_b32 s3, exec_lo, s10
; %bb.15:                               ;   in Loop: Header=BB27_10 Depth=2
	v_min_i64 v[4:5], v[10:11], v[4:5]
                                        ; implicit-def: $vgpr25
; %bb.16:                               ;   in Loop: Header=BB27_10 Depth=2
	s_or_saveexec_b32 s3, s3
	v_mov_b32_e32 v1, v24
	s_xor_b32 exec_lo, exec_lo, s3
	s_cbranch_execz .LBB27_9
; %bb.17:                               ;   in Loop: Header=BB27_10 Depth=2
	v_mov_b32_e32 v1, v25
	ds_store_b8 v12, v23 offset:32
	s_branch .LBB27_9
.LBB27_18:                              ;   in Loop: Header=BB27_7 Depth=1
	s_or_b32 exec_lo, exec_lo, s26
.LBB27_19:                              ;   in Loop: Header=BB27_7 Depth=1
	s_delay_alu instid0(SALU_CYCLE_1)
	s_or_b32 exec_lo, exec_lo, s25
	ds_bpermute_b32 v6, v15, v1
	s_wait_dscnt 0x0
	ds_load_u8 v7, v12 offset:32
	v_min_i32_e32 v1, v6, v1
	ds_bpermute_b32 v6, v16, v1
	s_wait_dscnt 0x0
	v_min_i32_e32 v1, v6, v1
	v_and_b32_e32 v6, 1, v7
	ds_bpermute_b32 v1, v17, v1
	v_cmp_eq_u32_e32 vcc_lo, 1, v6
	s_and_b32 s10, s2, vcc_lo
	s_delay_alu instid0(SALU_CYCLE_1)
	s_and_saveexec_b32 s3, s10
	s_cbranch_execz .LBB27_6
; %bb.20:                               ;   in Loop: Header=BB27_7 Depth=1
	ds_load_b64 v[6:7], v13
	s_wait_dscnt 0x0
	v_add_nc_u64_e32 v[6:7], 1, v[6:7]
	ds_store_b64 v13, v[6:7]
	s_branch .LBB27_6
.LBB27_21:
	s_or_b32 exec_lo, exec_lo, s13
.LBB27_22:
	s_delay_alu instid0(SALU_CYCLE_1)
	s_mov_b32 s2, exec_lo
	v_cmpx_eq_u32_e32 0, v2
	s_cbranch_execz .LBB27_25
; %bb.23:
	s_clause 0x1
	s_load_b32 s6, s[0:1], 0x40
	s_load_b64 s[2:3], s[0:1], 0x48
	v_mov_b32_e32 v1, 0
	v_lshl_or_b32 v0, s12, 2, v12
	s_wait_kmcnt 0x0
	v_mov_b32_e32 v2, s6
	s_delay_alu instid0(VALU_DEP_2)
	v_cmp_gt_i64_e32 vcc_lo, s[4:5], v[0:1]
	global_store_b32 v1, v2, s[2:3]
	s_wait_xcnt 0x0
	s_and_b32 exec_lo, exec_lo, vcc_lo
	s_cbranch_execz .LBB27_25
; %bb.24:
	ds_load_b32 v1, v13
	v_add_nc_u32_e32 v0, 1, v0
	s_wait_dscnt 0x0
	global_store_b32 v0, v1, s[2:3] scale_offset
.LBB27_25:
	s_endpgm
	.section	.rodata,"a",@progbits
	.p2align	6, 0x0
	.amdhsa_kernel _ZN9rocsparseL46csr2bsr_nnz_wavefront_per_row_multipass_kernelILj256ELj64ELj16EilEEvT3_S1_S1_S1_S1_21rocsparse_index_base_PKT2_PKS1_S2_PS3_
		.amdhsa_group_segment_fixed_size 40
		.amdhsa_private_segment_fixed_size 0
		.amdhsa_kernarg_size 80
		.amdhsa_user_sgpr_count 2
		.amdhsa_user_sgpr_dispatch_ptr 0
		.amdhsa_user_sgpr_queue_ptr 0
		.amdhsa_user_sgpr_kernarg_segment_ptr 1
		.amdhsa_user_sgpr_dispatch_id 0
		.amdhsa_user_sgpr_kernarg_preload_length 0
		.amdhsa_user_sgpr_kernarg_preload_offset 0
		.amdhsa_user_sgpr_private_segment_size 0
		.amdhsa_wavefront_size32 1
		.amdhsa_uses_dynamic_stack 0
		.amdhsa_enable_private_segment 0
		.amdhsa_system_sgpr_workgroup_id_x 1
		.amdhsa_system_sgpr_workgroup_id_y 0
		.amdhsa_system_sgpr_workgroup_id_z 0
		.amdhsa_system_sgpr_workgroup_info 0
		.amdhsa_system_vgpr_workitem_id 0
		.amdhsa_next_free_vgpr 36
		.amdhsa_next_free_sgpr 38
		.amdhsa_named_barrier_count 0
		.amdhsa_reserve_vcc 1
		.amdhsa_float_round_mode_32 0
		.amdhsa_float_round_mode_16_64 0
		.amdhsa_float_denorm_mode_32 3
		.amdhsa_float_denorm_mode_16_64 3
		.amdhsa_fp16_overflow 0
		.amdhsa_memory_ordered 1
		.amdhsa_forward_progress 1
		.amdhsa_inst_pref_size 15
		.amdhsa_round_robin_scheduling 0
		.amdhsa_exception_fp_ieee_invalid_op 0
		.amdhsa_exception_fp_denorm_src 0
		.amdhsa_exception_fp_ieee_div_zero 0
		.amdhsa_exception_fp_ieee_overflow 0
		.amdhsa_exception_fp_ieee_underflow 0
		.amdhsa_exception_fp_ieee_inexact 0
		.amdhsa_exception_int_div_zero 0
	.end_amdhsa_kernel
	.section	.text._ZN9rocsparseL46csr2bsr_nnz_wavefront_per_row_multipass_kernelILj256ELj64ELj16EilEEvT3_S1_S1_S1_S1_21rocsparse_index_base_PKT2_PKS1_S2_PS3_,"axG",@progbits,_ZN9rocsparseL46csr2bsr_nnz_wavefront_per_row_multipass_kernelILj256ELj64ELj16EilEEvT3_S1_S1_S1_S1_21rocsparse_index_base_PKT2_PKS1_S2_PS3_,comdat
.Lfunc_end27:
	.size	_ZN9rocsparseL46csr2bsr_nnz_wavefront_per_row_multipass_kernelILj256ELj64ELj16EilEEvT3_S1_S1_S1_S1_21rocsparse_index_base_PKT2_PKS1_S2_PS3_, .Lfunc_end27-_ZN9rocsparseL46csr2bsr_nnz_wavefront_per_row_multipass_kernelILj256ELj64ELj16EilEEvT3_S1_S1_S1_S1_21rocsparse_index_base_PKT2_PKS1_S2_PS3_
                                        ; -- End function
	.set _ZN9rocsparseL46csr2bsr_nnz_wavefront_per_row_multipass_kernelILj256ELj64ELj16EilEEvT3_S1_S1_S1_S1_21rocsparse_index_base_PKT2_PKS1_S2_PS3_.num_vgpr, 36
	.set _ZN9rocsparseL46csr2bsr_nnz_wavefront_per_row_multipass_kernelILj256ELj64ELj16EilEEvT3_S1_S1_S1_S1_21rocsparse_index_base_PKT2_PKS1_S2_PS3_.num_agpr, 0
	.set _ZN9rocsparseL46csr2bsr_nnz_wavefront_per_row_multipass_kernelILj256ELj64ELj16EilEEvT3_S1_S1_S1_S1_21rocsparse_index_base_PKT2_PKS1_S2_PS3_.numbered_sgpr, 38
	.set _ZN9rocsparseL46csr2bsr_nnz_wavefront_per_row_multipass_kernelILj256ELj64ELj16EilEEvT3_S1_S1_S1_S1_21rocsparse_index_base_PKT2_PKS1_S2_PS3_.num_named_barrier, 0
	.set _ZN9rocsparseL46csr2bsr_nnz_wavefront_per_row_multipass_kernelILj256ELj64ELj16EilEEvT3_S1_S1_S1_S1_21rocsparse_index_base_PKT2_PKS1_S2_PS3_.private_seg_size, 0
	.set _ZN9rocsparseL46csr2bsr_nnz_wavefront_per_row_multipass_kernelILj256ELj64ELj16EilEEvT3_S1_S1_S1_S1_21rocsparse_index_base_PKT2_PKS1_S2_PS3_.uses_vcc, 1
	.set _ZN9rocsparseL46csr2bsr_nnz_wavefront_per_row_multipass_kernelILj256ELj64ELj16EilEEvT3_S1_S1_S1_S1_21rocsparse_index_base_PKT2_PKS1_S2_PS3_.uses_flat_scratch, 0
	.set _ZN9rocsparseL46csr2bsr_nnz_wavefront_per_row_multipass_kernelILj256ELj64ELj16EilEEvT3_S1_S1_S1_S1_21rocsparse_index_base_PKT2_PKS1_S2_PS3_.has_dyn_sized_stack, 0
	.set _ZN9rocsparseL46csr2bsr_nnz_wavefront_per_row_multipass_kernelILj256ELj64ELj16EilEEvT3_S1_S1_S1_S1_21rocsparse_index_base_PKT2_PKS1_S2_PS3_.has_recursion, 0
	.set _ZN9rocsparseL46csr2bsr_nnz_wavefront_per_row_multipass_kernelILj256ELj64ELj16EilEEvT3_S1_S1_S1_S1_21rocsparse_index_base_PKT2_PKS1_S2_PS3_.has_indirect_call, 0
	.section	.AMDGPU.csdata,"",@progbits
; Kernel info:
; codeLenInByte = 1896
; TotalNumSgprs: 40
; NumVgprs: 36
; ScratchSize: 0
; MemoryBound: 0
; FloatMode: 240
; IeeeMode: 1
; LDSByteSize: 40 bytes/workgroup (compile time only)
; SGPRBlocks: 0
; VGPRBlocks: 2
; NumSGPRsForWavesPerEU: 40
; NumVGPRsForWavesPerEU: 36
; NamedBarCnt: 0
; Occupancy: 16
; WaveLimiterHint : 0
; COMPUTE_PGM_RSRC2:SCRATCH_EN: 0
; COMPUTE_PGM_RSRC2:USER_SGPR: 2
; COMPUTE_PGM_RSRC2:TRAP_HANDLER: 0
; COMPUTE_PGM_RSRC2:TGID_X_EN: 1
; COMPUTE_PGM_RSRC2:TGID_Y_EN: 0
; COMPUTE_PGM_RSRC2:TGID_Z_EN: 0
; COMPUTE_PGM_RSRC2:TIDIG_COMP_CNT: 0
	.section	.text._ZN9rocsparseL46csr2bsr_nnz_wavefront_per_row_multipass_kernelILj256ELj32ELj16EilEEvT3_S1_S1_S1_S1_21rocsparse_index_base_PKT2_PKS1_S2_PS3_,"axG",@progbits,_ZN9rocsparseL46csr2bsr_nnz_wavefront_per_row_multipass_kernelILj256ELj32ELj16EilEEvT3_S1_S1_S1_S1_21rocsparse_index_base_PKT2_PKS1_S2_PS3_,comdat
	.globl	_ZN9rocsparseL46csr2bsr_nnz_wavefront_per_row_multipass_kernelILj256ELj32ELj16EilEEvT3_S1_S1_S1_S1_21rocsparse_index_base_PKT2_PKS1_S2_PS3_ ; -- Begin function _ZN9rocsparseL46csr2bsr_nnz_wavefront_per_row_multipass_kernelILj256ELj32ELj16EilEEvT3_S1_S1_S1_S1_21rocsparse_index_base_PKT2_PKS1_S2_PS3_
	.p2align	8
	.type	_ZN9rocsparseL46csr2bsr_nnz_wavefront_per_row_multipass_kernelILj256ELj32ELj16EilEEvT3_S1_S1_S1_S1_21rocsparse_index_base_PKT2_PKS1_S2_PS3_,@function
_ZN9rocsparseL46csr2bsr_nnz_wavefront_per_row_multipass_kernelILj256ELj32ELj16EilEEvT3_S1_S1_S1_S1_21rocsparse_index_base_PKT2_PKS1_S2_PS3_: ; @_ZN9rocsparseL46csr2bsr_nnz_wavefront_per_row_multipass_kernelILj256ELj32ELj16EilEEvT3_S1_S1_S1_S1_21rocsparse_index_base_PKT2_PKS1_S2_PS3_
; %bb.0:
	s_bfe_u32 s2, ttmp6, 0x4000c
	s_clause 0x1
	s_load_b96 s[8:10], s[0:1], 0x20
	s_load_b64 s[14:15], s[0:1], 0x30
	s_add_co_i32 s2, s2, 1
	s_and_b32 s3, ttmp6, 15
	s_mul_i32 s2, ttmp9, s2
	s_getreg_b32 s4, hwreg(HW_REG_IB_STS2, 6, 4)
	s_add_co_i32 s3, s3, s2
	s_cmp_eq_u32 s4, 0
	v_dual_mov_b32 v3, 0 :: v_dual_lshrrev_b32 v12, 5, v0
	s_cselect_b32 s12, ttmp9, s3
	v_bfe_u32 v2, v0, 1, 4
	s_ashr_i32 s13, s12, 31
	v_mov_b64_e32 v[6:7], 0
	s_lshl_b64 s[2:3], s[12:13], 3
	s_delay_alu instid0(SALU_CYCLE_1)
	v_dual_lshlrev_b32 v13, 3, v12 :: v_dual_bitop2_b32 v1, s2, v12 bitop3:0x54
	s_load_b128 s[4:7], s[0:1], 0x10
	ds_store_b64 v13, v[6:7]
	s_wait_kmcnt 0x0
	v_mad_nc_u64_u32 v[4:5], v1, s8, v[2:3]
	s_wait_dscnt 0x0
	s_barrier_signal -1
	s_barrier_wait -1
	s_delay_alu instid0(VALU_DEP_1) | instskip(SKIP_1) | instid1(VALU_DEP_1)
	v_mad_u32 v5, s3, s8, v5
	s_load_b64 s[2:3], s[0:1], 0x0
	v_mad_u32 v5, v1, s9, v5
	v_mov_b32_e32 v1, 0
	s_wait_kmcnt 0x0
	s_delay_alu instid0(VALU_DEP_2) | instskip(SKIP_2) | instid1(SALU_CYCLE_1)
	v_cmp_gt_i64_e32 vcc_lo, s[2:3], v[4:5]
	v_cmp_gt_i64_e64 s2, s[8:9], v[2:3]
	s_and_b32 s2, s2, vcc_lo
	s_and_saveexec_b32 s3, s2
	s_cbranch_execz .LBB28_2
; %bb.1:
	v_lshl_add_u64 v[6:7], v[4:5], 2, s[14:15]
	global_load_b32 v1, v[6:7], off
	s_wait_loadcnt 0x0
	v_subrev_nc_u32_e32 v1, s10, v1
.LBB28_2:
	s_or_b32 exec_lo, exec_lo, s3
	s_and_saveexec_b32 s3, s2
	s_cbranch_execz .LBB28_4
; %bb.3:
	v_lshl_add_u64 v[2:3], v[4:5], 2, s[14:15]
	global_load_b32 v2, v[2:3], off offset:4
	s_wait_loadcnt 0x0
	v_subrev_nc_u32_e32 v3, s10, v2
.LBB28_4:
	s_or_b32 exec_lo, exec_lo, s3
	v_cmp_lt_i64_e64 s2, s[6:7], 1
	v_and_b32_e32 v2, 31, v0
	s_and_b32 vcc_lo, exec_lo, s2
	s_delay_alu instid0(VALU_DEP_1)
	v_cmp_eq_u32_e64 s2, 0, v2
	s_cbranch_vccnz .LBB28_22
; %bb.5:
	v_mbcnt_lo_u32_b32 v4, -1, 0
	v_and_b32_e32 v14, 1, v0
	s_load_b64 s[14:15], s[0:1], 0x38
	v_mov_b32_e32 v22, 1
	s_mov_b32 s11, 0
	v_xor_b32_e32 v6, 8, v4
	v_xor_b32_e32 v5, 16, v4
	;; [unrolled: 1-line block ×4, first 2 shown]
	v_lshl_or_b32 v16, v4, 2, 4
	s_mov_b32 s16, s10
	s_mov_b32 s17, s11
	v_cmp_gt_i32_e32 vcc_lo, 32, v0
	s_mov_b64 s[18:19], 0xffffffff
	s_ashr_i32 s20, s9, 31
	s_sub_co_i32 s24, 0, s8
	s_mov_b32 s13, 0
	v_cndmask_b32_e32 v0, v4, v0, vcc_lo
	v_cmp_gt_i32_e32 vcc_lo, 32, v5
	v_mov_b32_e32 v21, 0x7c
	s_delay_alu instid0(VALU_DEP_3) | instskip(NEXT) | instid1(VALU_DEP_1)
	v_dual_lshlrev_b32 v15, 2, v0 :: v_dual_cndmask_b32 v5, v4, v5, vcc_lo
	v_lshlrev_b32_e32 v17, 2, v5
	v_cmp_gt_i32_e32 vcc_lo, 32, v6
	v_cndmask_b32_e32 v0, v4, v6, vcc_lo
	v_cmp_gt_i32_e32 vcc_lo, 32, v7
	v_xor_b32_e32 v8, 2, v4
	s_delay_alu instid0(VALU_DEP_3) | instskip(NEXT) | instid1(VALU_DEP_2)
	v_dual_lshlrev_b32 v18, 2, v0 :: v_dual_cndmask_b32 v6, v4, v7, vcc_lo
	v_cmp_gt_i32_e32 vcc_lo, 32, v8
	s_delay_alu instid0(VALU_DEP_2) | instskip(SKIP_1) | instid1(VALU_DEP_1)
	v_dual_mov_b32 v0, 0 :: v_dual_lshlrev_b32 v19, 2, v6
	v_cndmask_b32_e32 v7, v4, v8, vcc_lo
	v_lshlrev_b32_e32 v20, 2, v7
	v_mov_b64_e32 v[6:7], 0
	s_branch .LBB28_7
.LBB28_6:                               ;   in Loop: Header=BB28_7 Depth=1
	s_or_b32 exec_lo, exec_lo, s3
	ds_bpermute_b32 v6, v17, v4
	ds_bpermute_b32 v7, v17, v5
	s_wait_dscnt 0x0
	v_min_i64 v[4:5], v[6:7], v[4:5]
	ds_bpermute_b32 v6, v18, v4
	ds_bpermute_b32 v7, v18, v5
	s_wait_dscnt 0x0
	v_min_i64 v[4:5], v[6:7], v[4:5]
	;; [unrolled: 4-line block ×5, first 2 shown]
	ds_bpermute_b32 v6, v21, v4
	s_wait_dscnt 0x0
	v_ashrrev_i32_e32 v7, 31, v6
	s_delay_alu instid0(VALU_DEP_1) | instskip(SKIP_1) | instid1(SALU_CYCLE_1)
	v_cmp_le_i64_e32 vcc_lo, s[6:7], v[6:7]
	s_or_b32 s13, vcc_lo, s13
	s_and_not1_b32 exec_lo, exec_lo, s13
	s_cbranch_execz .LBB28_21
.LBB28_7:                               ; =>This Loop Header: Depth=1
                                        ;     Child Loop BB28_10 Depth 2
	v_mov_b64_e32 v[4:5], s[6:7]
	v_dual_add_nc_u32 v23, v1, v14 :: v_dual_mov_b32 v1, v3
	s_mov_b32 s25, exec_lo
	ds_store_b8 v12, v0 offset:64
	s_wait_dscnt 0x0
	v_cmpx_lt_i32_e64 v23, v3
	s_cbranch_execz .LBB28_19
; %bb.8:                                ;   in Loop: Header=BB28_7 Depth=1
	v_mov_b64_e32 v[4:5], s[6:7]
	v_mov_b32_e32 v24, v3
	s_mov_b32 s26, 0
	s_branch .LBB28_10
.LBB28_9:                               ;   in Loop: Header=BB28_10 Depth=2
	s_or_b32 exec_lo, exec_lo, s3
	s_delay_alu instid0(VALU_DEP_1) | instskip(SKIP_1) | instid1(VALU_DEP_1)
	v_dual_mov_b32 v24, v1 :: v_dual_add_nc_u32 v23, 2, v23
	s_xor_b32 s10, vcc_lo, -1
	v_cmp_ge_i32_e64 s3, v23, v3
	s_or_b32 s3, s10, s3
	s_delay_alu instid0(SALU_CYCLE_1) | instskip(NEXT) | instid1(SALU_CYCLE_1)
	s_and_b32 s3, exec_lo, s3
	s_or_b32 s26, s3, s26
	s_delay_alu instid0(SALU_CYCLE_1)
	s_and_not1_b32 exec_lo, exec_lo, s26
	s_cbranch_execz .LBB28_18
.LBB28_10:                              ;   Parent Loop BB28_7 Depth=1
                                        ; =>  This Inner Loop Header: Depth=2
	s_wait_kmcnt 0x0
	global_load_b64 v[8:9], v23, s[14:15] scale_offset
                                        ; implicit-def: $vgpr10_vgpr11
	s_mov_b32 s3, exec_lo
	s_wait_loadcnt 0x0
	v_sub_nc_u64_e64 v[8:9], v[8:9], s[16:17]
	s_delay_alu instid0(VALU_DEP_1) | instskip(SKIP_1) | instid1(VALU_DEP_1)
	v_or_b32_e32 v1, s9, v9
	s_wait_xcnt 0x0
	v_cmpx_ne_u64_e32 0, v[0:1]
	s_xor_b32 s27, exec_lo, s3
	s_cbranch_execz .LBB28_12
; %bb.11:                               ;   in Loop: Header=BB28_10 Depth=2
	s_mov_b32 s21, s20
	v_dual_mov_b32 v27, v0 :: v_dual_ashrrev_i32 v10, 31, v9
	s_add_nc_u64 s[22:23], s[8:9], s[20:21]
	s_delay_alu instid0(SALU_CYCLE_1) | instskip(NEXT) | instid1(VALU_DEP_1)
	s_xor_b64 s[22:23], s[22:23], s[20:21]
	v_mov_b32_e32 v11, v10
	s_cvt_f32_u32 s3, s22
	s_cvt_f32_u32 s10, s23
	s_sub_nc_u64 s[30:31], 0, s[22:23]
	s_delay_alu instid0(VALU_DEP_1) | instskip(NEXT) | instid1(SALU_CYCLE_1)
	v_add_nc_u64_e32 v[8:9], v[8:9], v[10:11]
	s_fmamk_f32 s3, s10, 0x4f800000, s3
	v_mov_b32_e32 v31, v0
	s_delay_alu instid0(SALU_CYCLE_2) | instskip(NEXT) | instid1(VALU_DEP_2)
	v_s_rcp_f32 s3, s3
	v_xor_b32_e32 v26, v8, v10
	s_delay_alu instid0(VALU_DEP_3) | instskip(NEXT) | instid1(TRANS32_DEP_1)
	v_dual_mov_b32 v35, v0 :: v_dual_bitop2_b32 v30, v9, v10 bitop3:0x14
	s_mul_f32 s3, s3, 0x5f7ffffc
	s_delay_alu instid0(SALU_CYCLE_3) | instskip(NEXT) | instid1(SALU_CYCLE_3)
	s_mul_f32 s10, s3, 0x2f800000
	s_trunc_f32 s10, s10
	s_delay_alu instid0(SALU_CYCLE_3) | instskip(SKIP_1) | instid1(SALU_CYCLE_2)
	s_fmamk_f32 s3, s10, 0xcf800000, s3
	s_cvt_u32_f32 s29, s10
	s_cvt_u32_f32 s28, s3
	s_delay_alu instid0(SALU_CYCLE_3) | instskip(NEXT) | instid1(SALU_CYCLE_1)
	s_mul_u64 s[34:35], s[30:31], s[28:29]
	s_mul_hi_u32 s37, s28, s35
	s_mul_i32 s36, s28, s35
	s_mul_hi_u32 s10, s28, s34
	s_mul_i32 s21, s29, s34
	s_add_nc_u64 s[36:37], s[10:11], s[36:37]
	s_mul_hi_u32 s3, s29, s34
	s_mul_hi_u32 s33, s29, s35
	s_add_co_u32 s10, s36, s21
	s_add_co_ci_u32 s10, s37, s3
	s_mul_i32 s34, s29, s35
	s_add_co_ci_u32 s35, s33, 0
	s_delay_alu instid0(SALU_CYCLE_1) | instskip(NEXT) | instid1(SALU_CYCLE_1)
	s_add_nc_u64 s[34:35], s[10:11], s[34:35]
	s_add_co_u32 s28, s28, s34
	s_cselect_b32 s3, -1, 0
	s_delay_alu instid0(SALU_CYCLE_1) | instskip(SKIP_1) | instid1(SALU_CYCLE_1)
	s_cmp_lg_u32 s3, 0
	s_add_co_ci_u32 s29, s29, s35
	s_mul_u64 s[30:31], s[30:31], s[28:29]
	s_delay_alu instid0(SALU_CYCLE_1)
	s_mul_hi_u32 s35, s28, s31
	s_mul_i32 s34, s28, s31
	s_mul_hi_u32 s10, s28, s30
	s_mul_i32 s21, s29, s30
	s_add_nc_u64 s[34:35], s[10:11], s[34:35]
	s_mul_hi_u32 s3, s29, s30
	s_mul_hi_u32 s33, s29, s31
	s_add_co_u32 s10, s34, s21
	s_add_co_ci_u32 s10, s35, s3
	s_mul_i32 s30, s29, s31
	s_add_co_ci_u32 s31, s33, 0
	s_delay_alu instid0(SALU_CYCLE_1) | instskip(NEXT) | instid1(SALU_CYCLE_1)
	s_add_nc_u64 s[30:31], s[10:11], s[30:31]
	s_add_co_u32 s28, s28, s30
	s_cselect_b32 s3, -1, 0
	v_mul_hi_u32 v34, v26, s28
	s_cmp_lg_u32 s3, 0
	s_add_co_ci_u32 s10, s29, s31
	s_and_b64 s[30:31], s[28:29], s[18:19]
	v_mul_u64_e32 v[28:29], s[10:11], v[26:27]
	v_mul_u64_e32 v[8:9], s[30:31], v[30:31]
	v_mul_u64_e32 v[32:33], s[10:11], v[30:31]
	s_delay_alu instid0(VALU_DEP_3) | instskip(NEXT) | instid1(VALU_DEP_1)
	v_add_nc_u64_e32 v[28:29], v[34:35], v[28:29]
	v_add_co_u32 v1, vcc_lo, v28, v8
	s_delay_alu instid0(VALU_DEP_2) | instskip(NEXT) | instid1(VALU_DEP_4)
	v_add_co_ci_u32_e32 v34, vcc_lo, v29, v9, vcc_lo
	v_add_co_ci_u32_e32 v33, vcc_lo, 0, v33, vcc_lo
	s_delay_alu instid0(VALU_DEP_1) | instskip(NEXT) | instid1(VALU_DEP_1)
	v_add_nc_u64_e32 v[8:9], v[34:35], v[32:33]
	v_mul_u64_e32 v[28:29], s[22:23], v[8:9]
	s_delay_alu instid0(VALU_DEP_1) | instskip(NEXT) | instid1(VALU_DEP_2)
	v_sub_nc_u32_e32 v1, v30, v29
	v_sub_co_u32 v11, vcc_lo, v26, v28
	s_delay_alu instid0(VALU_DEP_1) | instskip(NEXT) | instid1(VALU_DEP_3)
	v_sub_co_ci_u32_e64 v30, null, v30, v29, vcc_lo
	v_subrev_co_ci_u32_e64 v1, null, s23, v1, vcc_lo
	s_delay_alu instid0(VALU_DEP_3) | instskip(SKIP_1) | instid1(VALU_DEP_3)
	v_sub_co_u32 v25, s3, v11, s22
	v_add_nc_u64_e32 v[28:29], 1, v[8:9]
	v_subrev_co_ci_u32_e64 v1, null, 0, v1, s3
	s_delay_alu instid0(VALU_DEP_3) | instskip(SKIP_1) | instid1(VALU_DEP_3)
	v_cmp_le_u32_e32 vcc_lo, s22, v25
	v_cndmask_b32_e64 v25, 0, -1, vcc_lo
	v_cmp_le_u32_e32 vcc_lo, s23, v1
	v_cndmask_b32_e64 v26, 0, -1, vcc_lo
	;; [unrolled: 2-line block ×4, first 2 shown]
	v_cmp_eq_u32_e32 vcc_lo, s23, v1
	v_cndmask_b32_e32 v1, v26, v25, vcc_lo
	v_cmp_eq_u32_e32 vcc_lo, s23, v30
	v_add_nc_u64_e32 v[26:27], 2, v[8:9]
	v_cndmask_b32_e32 v11, v31, v11, vcc_lo
	s_delay_alu instid0(VALU_DEP_4) | instskip(NEXT) | instid1(VALU_DEP_2)
	v_cmp_ne_u32_e32 vcc_lo, 0, v1
	v_cmp_ne_u32_e64 s3, 0, v11
	s_delay_alu instid0(VALU_DEP_4) | instskip(NEXT) | instid1(VALU_DEP_1)
	v_dual_cndmask_b32 v1, v29, v27, vcc_lo :: v_dual_cndmask_b32 v11, v28, v26, vcc_lo
	v_dual_cndmask_b32 v1, v9, v1, s3 :: v_dual_bitop2_b32 v10, s20, v10 bitop3:0x14
	s_delay_alu instid0(VALU_DEP_1) | instskip(NEXT) | instid1(VALU_DEP_2)
	v_dual_cndmask_b32 v8, v8, v11, s3 :: v_dual_mov_b32 v11, v10
	v_xor_b32_e32 v9, v1, v10
	s_delay_alu instid0(VALU_DEP_2) | instskip(NEXT) | instid1(VALU_DEP_1)
	v_xor_b32_e32 v8, v8, v10
	v_sub_nc_u64_e32 v[10:11], v[8:9], v[10:11]
                                        ; implicit-def: $vgpr8_vgpr9
.LBB28_12:                              ;   in Loop: Header=BB28_10 Depth=2
	s_and_not1_saveexec_b32 s3, s27
	s_cbranch_execz .LBB28_14
; %bb.13:                               ;   in Loop: Header=BB28_10 Depth=2
	v_cvt_f32_u32_e32 v1, s8
	v_mov_b32_e32 v11, v0
	s_delay_alu instid0(VALU_DEP_2) | instskip(SKIP_1) | instid1(TRANS32_DEP_1)
	v_rcp_iflag_f32_e32 v1, v1
	v_nop
	v_mul_f32_e32 v1, 0x4f7ffffe, v1
	s_delay_alu instid0(VALU_DEP_1) | instskip(NEXT) | instid1(VALU_DEP_1)
	v_cvt_u32_f32_e32 v1, v1
	v_mul_lo_u32 v9, s24, v1
	s_delay_alu instid0(VALU_DEP_1) | instskip(NEXT) | instid1(VALU_DEP_1)
	v_mul_hi_u32 v9, v1, v9
	v_add_nc_u32_e32 v1, v1, v9
	s_delay_alu instid0(VALU_DEP_1) | instskip(NEXT) | instid1(VALU_DEP_1)
	v_mul_hi_u32 v1, v8, v1
	v_mul_lo_u32 v9, v1, s8
	s_delay_alu instid0(VALU_DEP_1) | instskip(SKIP_1) | instid1(VALU_DEP_2)
	v_sub_nc_u32_e32 v8, v8, v9
	v_add_nc_u32_e32 v9, 1, v1
	v_subrev_nc_u32_e32 v10, s8, v8
	v_cmp_le_u32_e32 vcc_lo, s8, v8
	s_delay_alu instid0(VALU_DEP_2) | instskip(NEXT) | instid1(VALU_DEP_1)
	v_dual_cndmask_b32 v8, v8, v10 :: v_dual_cndmask_b32 v1, v1, v9
	v_cmp_le_u32_e32 vcc_lo, s8, v8
	s_delay_alu instid0(VALU_DEP_2) | instskip(NEXT) | instid1(VALU_DEP_1)
	v_add_nc_u32_e32 v9, 1, v1
	v_cndmask_b32_e32 v10, v1, v9, vcc_lo
.LBB28_14:                              ;   in Loop: Header=BB28_10 Depth=2
	s_or_b32 exec_lo, exec_lo, s3
	s_delay_alu instid0(VALU_DEP_1) | instskip(SKIP_2) | instid1(SALU_CYCLE_1)
	v_cmp_ne_u64_e64 s3, v[10:11], v[6:7]
	v_cmp_eq_u64_e32 vcc_lo, v[10:11], v[6:7]
	s_and_saveexec_b32 s10, s3
	s_xor_b32 s3, exec_lo, s10
; %bb.15:                               ;   in Loop: Header=BB28_10 Depth=2
	v_min_i64 v[4:5], v[10:11], v[4:5]
                                        ; implicit-def: $vgpr24
; %bb.16:                               ;   in Loop: Header=BB28_10 Depth=2
	s_or_saveexec_b32 s3, s3
	v_mov_b32_e32 v1, v23
	s_xor_b32 exec_lo, exec_lo, s3
	s_cbranch_execz .LBB28_9
; %bb.17:                               ;   in Loop: Header=BB28_10 Depth=2
	v_mov_b32_e32 v1, v24
	ds_store_b8 v12, v22 offset:64
	s_branch .LBB28_9
.LBB28_18:                              ;   in Loop: Header=BB28_7 Depth=1
	s_or_b32 exec_lo, exec_lo, s26
.LBB28_19:                              ;   in Loop: Header=BB28_7 Depth=1
	s_delay_alu instid0(SALU_CYCLE_1)
	s_or_b32 exec_lo, exec_lo, s25
	ds_bpermute_b32 v6, v15, v1
	s_wait_dscnt 0x0
	ds_load_u8 v7, v12 offset:64
	v_min_i32_e32 v1, v6, v1
	s_wait_dscnt 0x0
	v_and_b32_e32 v6, 1, v7
	ds_bpermute_b32 v1, v16, v1
	v_cmp_eq_u32_e32 vcc_lo, 1, v6
	s_and_b32 s10, s2, vcc_lo
	s_delay_alu instid0(SALU_CYCLE_1)
	s_and_saveexec_b32 s3, s10
	s_cbranch_execz .LBB28_6
; %bb.20:                               ;   in Loop: Header=BB28_7 Depth=1
	ds_load_b64 v[6:7], v13
	s_wait_dscnt 0x0
	v_add_nc_u64_e32 v[6:7], 1, v[6:7]
	ds_store_b64 v13, v[6:7]
	s_branch .LBB28_6
.LBB28_21:
	s_or_b32 exec_lo, exec_lo, s13
.LBB28_22:
	s_delay_alu instid0(SALU_CYCLE_1)
	s_mov_b32 s2, exec_lo
	v_cmpx_eq_u32_e32 0, v2
	s_cbranch_execz .LBB28_25
; %bb.23:
	s_clause 0x1
	s_load_b32 s6, s[0:1], 0x40
	s_load_b64 s[2:3], s[0:1], 0x48
	v_mov_b32_e32 v1, 0
	v_lshl_or_b32 v0, s12, 3, v12
	s_wait_kmcnt 0x0
	v_mov_b32_e32 v2, s6
	s_delay_alu instid0(VALU_DEP_2)
	v_cmp_gt_i64_e32 vcc_lo, s[4:5], v[0:1]
	global_store_b32 v1, v2, s[2:3]
	s_wait_xcnt 0x0
	s_and_b32 exec_lo, exec_lo, vcc_lo
	s_cbranch_execz .LBB28_25
; %bb.24:
	ds_load_b32 v1, v13
	v_add_nc_u32_e32 v0, 1, v0
	s_wait_dscnt 0x0
	global_store_b32 v0, v1, s[2:3] scale_offset
.LBB28_25:
	s_endpgm
	.section	.rodata,"a",@progbits
	.p2align	6, 0x0
	.amdhsa_kernel _ZN9rocsparseL46csr2bsr_nnz_wavefront_per_row_multipass_kernelILj256ELj32ELj16EilEEvT3_S1_S1_S1_S1_21rocsparse_index_base_PKT2_PKS1_S2_PS3_
		.amdhsa_group_segment_fixed_size 72
		.amdhsa_private_segment_fixed_size 0
		.amdhsa_kernarg_size 80
		.amdhsa_user_sgpr_count 2
		.amdhsa_user_sgpr_dispatch_ptr 0
		.amdhsa_user_sgpr_queue_ptr 0
		.amdhsa_user_sgpr_kernarg_segment_ptr 1
		.amdhsa_user_sgpr_dispatch_id 0
		.amdhsa_user_sgpr_kernarg_preload_length 0
		.amdhsa_user_sgpr_kernarg_preload_offset 0
		.amdhsa_user_sgpr_private_segment_size 0
		.amdhsa_wavefront_size32 1
		.amdhsa_uses_dynamic_stack 0
		.amdhsa_enable_private_segment 0
		.amdhsa_system_sgpr_workgroup_id_x 1
		.amdhsa_system_sgpr_workgroup_id_y 0
		.amdhsa_system_sgpr_workgroup_id_z 0
		.amdhsa_system_sgpr_workgroup_info 0
		.amdhsa_system_vgpr_workitem_id 0
		.amdhsa_next_free_vgpr 36
		.amdhsa_next_free_sgpr 38
		.amdhsa_named_barrier_count 0
		.amdhsa_reserve_vcc 1
		.amdhsa_float_round_mode_32 0
		.amdhsa_float_round_mode_16_64 0
		.amdhsa_float_denorm_mode_32 3
		.amdhsa_float_denorm_mode_16_64 3
		.amdhsa_fp16_overflow 0
		.amdhsa_memory_ordered 1
		.amdhsa_forward_progress 1
		.amdhsa_inst_pref_size 15
		.amdhsa_round_robin_scheduling 0
		.amdhsa_exception_fp_ieee_invalid_op 0
		.amdhsa_exception_fp_denorm_src 0
		.amdhsa_exception_fp_ieee_div_zero 0
		.amdhsa_exception_fp_ieee_overflow 0
		.amdhsa_exception_fp_ieee_underflow 0
		.amdhsa_exception_fp_ieee_inexact 0
		.amdhsa_exception_int_div_zero 0
	.end_amdhsa_kernel
	.section	.text._ZN9rocsparseL46csr2bsr_nnz_wavefront_per_row_multipass_kernelILj256ELj32ELj16EilEEvT3_S1_S1_S1_S1_21rocsparse_index_base_PKT2_PKS1_S2_PS3_,"axG",@progbits,_ZN9rocsparseL46csr2bsr_nnz_wavefront_per_row_multipass_kernelILj256ELj32ELj16EilEEvT3_S1_S1_S1_S1_21rocsparse_index_base_PKT2_PKS1_S2_PS3_,comdat
.Lfunc_end28:
	.size	_ZN9rocsparseL46csr2bsr_nnz_wavefront_per_row_multipass_kernelILj256ELj32ELj16EilEEvT3_S1_S1_S1_S1_21rocsparse_index_base_PKT2_PKS1_S2_PS3_, .Lfunc_end28-_ZN9rocsparseL46csr2bsr_nnz_wavefront_per_row_multipass_kernelILj256ELj32ELj16EilEEvT3_S1_S1_S1_S1_21rocsparse_index_base_PKT2_PKS1_S2_PS3_
                                        ; -- End function
	.set _ZN9rocsparseL46csr2bsr_nnz_wavefront_per_row_multipass_kernelILj256ELj32ELj16EilEEvT3_S1_S1_S1_S1_21rocsparse_index_base_PKT2_PKS1_S2_PS3_.num_vgpr, 36
	.set _ZN9rocsparseL46csr2bsr_nnz_wavefront_per_row_multipass_kernelILj256ELj32ELj16EilEEvT3_S1_S1_S1_S1_21rocsparse_index_base_PKT2_PKS1_S2_PS3_.num_agpr, 0
	.set _ZN9rocsparseL46csr2bsr_nnz_wavefront_per_row_multipass_kernelILj256ELj32ELj16EilEEvT3_S1_S1_S1_S1_21rocsparse_index_base_PKT2_PKS1_S2_PS3_.numbered_sgpr, 38
	.set _ZN9rocsparseL46csr2bsr_nnz_wavefront_per_row_multipass_kernelILj256ELj32ELj16EilEEvT3_S1_S1_S1_S1_21rocsparse_index_base_PKT2_PKS1_S2_PS3_.num_named_barrier, 0
	.set _ZN9rocsparseL46csr2bsr_nnz_wavefront_per_row_multipass_kernelILj256ELj32ELj16EilEEvT3_S1_S1_S1_S1_21rocsparse_index_base_PKT2_PKS1_S2_PS3_.private_seg_size, 0
	.set _ZN9rocsparseL46csr2bsr_nnz_wavefront_per_row_multipass_kernelILj256ELj32ELj16EilEEvT3_S1_S1_S1_S1_21rocsparse_index_base_PKT2_PKS1_S2_PS3_.uses_vcc, 1
	.set _ZN9rocsparseL46csr2bsr_nnz_wavefront_per_row_multipass_kernelILj256ELj32ELj16EilEEvT3_S1_S1_S1_S1_21rocsparse_index_base_PKT2_PKS1_S2_PS3_.uses_flat_scratch, 0
	.set _ZN9rocsparseL46csr2bsr_nnz_wavefront_per_row_multipass_kernelILj256ELj32ELj16EilEEvT3_S1_S1_S1_S1_21rocsparse_index_base_PKT2_PKS1_S2_PS3_.has_dyn_sized_stack, 0
	.set _ZN9rocsparseL46csr2bsr_nnz_wavefront_per_row_multipass_kernelILj256ELj32ELj16EilEEvT3_S1_S1_S1_S1_21rocsparse_index_base_PKT2_PKS1_S2_PS3_.has_recursion, 0
	.set _ZN9rocsparseL46csr2bsr_nnz_wavefront_per_row_multipass_kernelILj256ELj32ELj16EilEEvT3_S1_S1_S1_S1_21rocsparse_index_base_PKT2_PKS1_S2_PS3_.has_indirect_call, 0
	.section	.AMDGPU.csdata,"",@progbits
; Kernel info:
; codeLenInByte = 1836
; TotalNumSgprs: 40
; NumVgprs: 36
; ScratchSize: 0
; MemoryBound: 0
; FloatMode: 240
; IeeeMode: 1
; LDSByteSize: 72 bytes/workgroup (compile time only)
; SGPRBlocks: 0
; VGPRBlocks: 2
; NumSGPRsForWavesPerEU: 40
; NumVGPRsForWavesPerEU: 36
; NamedBarCnt: 0
; Occupancy: 16
; WaveLimiterHint : 0
; COMPUTE_PGM_RSRC2:SCRATCH_EN: 0
; COMPUTE_PGM_RSRC2:USER_SGPR: 2
; COMPUTE_PGM_RSRC2:TRAP_HANDLER: 0
; COMPUTE_PGM_RSRC2:TGID_X_EN: 1
; COMPUTE_PGM_RSRC2:TGID_Y_EN: 0
; COMPUTE_PGM_RSRC2:TGID_Z_EN: 0
; COMPUTE_PGM_RSRC2:TIDIG_COMP_CNT: 0
	.section	.text._ZN9rocsparseL42csr2bsr_nnz_block_per_row_multipass_kernelILj256ELj32EilEEvT2_S1_S1_S1_S1_21rocsparse_index_base_PKT1_PKS1_S2_PS3_,"axG",@progbits,_ZN9rocsparseL42csr2bsr_nnz_block_per_row_multipass_kernelILj256ELj32EilEEvT2_S1_S1_S1_S1_21rocsparse_index_base_PKT1_PKS1_S2_PS3_,comdat
	.globl	_ZN9rocsparseL42csr2bsr_nnz_block_per_row_multipass_kernelILj256ELj32EilEEvT2_S1_S1_S1_S1_21rocsparse_index_base_PKT1_PKS1_S2_PS3_ ; -- Begin function _ZN9rocsparseL42csr2bsr_nnz_block_per_row_multipass_kernelILj256ELj32EilEEvT2_S1_S1_S1_S1_21rocsparse_index_base_PKT1_PKS1_S2_PS3_
	.p2align	8
	.type	_ZN9rocsparseL42csr2bsr_nnz_block_per_row_multipass_kernelILj256ELj32EilEEvT2_S1_S1_S1_S1_21rocsparse_index_base_PKT1_PKS1_S2_PS3_,@function
_ZN9rocsparseL42csr2bsr_nnz_block_per_row_multipass_kernelILj256ELj32EilEEvT2_S1_S1_S1_S1_21rocsparse_index_base_PKT1_PKS1_S2_PS3_: ; @_ZN9rocsparseL42csr2bsr_nnz_block_per_row_multipass_kernelILj256ELj32EilEEvT2_S1_S1_S1_S1_21rocsparse_index_base_PKT1_PKS1_S2_PS3_
; %bb.0:
	s_clause 0x1
	s_load_b128 s[12:15], s[0:1], 0x18
	s_load_b64 s[2:3], s[0:1], 0x0
	s_bfe_u32 s5, ttmp6, 0x4000c
	s_and_b32 s4, ttmp6, 15
	s_add_co_i32 s5, s5, 1
	s_getreg_b32 s6, hwreg(HW_REG_IB_STS2, 6, 4)
	s_mul_i32 s5, ttmp9, s5
	v_dual_mov_b32 v3, 0 :: v_dual_lshrrev_b32 v2, 3, v0
	s_add_co_i32 s4, s4, s5
	s_cmp_eq_u32 s6, 0
	v_mov_b64_e32 v[6:7], 0
	s_cselect_b32 s16, ttmp9, s4
	s_clause 0x1
	s_load_b32 s18, s[0:1], 0x28
	s_load_b64 s[4:5], s[0:1], 0x30
	s_ashr_i32 s17, s16, 31
	v_mov_b32_e32 v10, 0
	ds_store_b64 v3, v[6:7] offset:2048
	s_wait_dscnt 0x0
	s_wait_kmcnt 0x0
	v_mad_nc_u64_u32 v[4:5], s14, s16, v[2:3]
	s_mul_i32 s6, s14, s17
	s_mul_i32 s7, s15, s16
	s_barrier_signal -1
	s_barrier_wait -1
	s_delay_alu instid0(VALU_DEP_1) | instskip(NEXT) | instid1(VALU_DEP_1)
	v_add3_u32 v5, s6, s7, v5
	v_cmp_gt_i64_e32 vcc_lo, s[2:3], v[4:5]
	v_cmp_gt_i64_e64 s2, s[14:15], v[2:3]
	s_and_b32 s2, s2, vcc_lo
	s_delay_alu instid0(SALU_CYCLE_1)
	s_and_saveexec_b32 s3, s2
	s_cbranch_execz .LBB29_2
; %bb.1:
	v_lshl_add_u64 v[6:7], v[4:5], 2, s[4:5]
	global_load_b32 v1, v[6:7], off
	s_wait_loadcnt 0x0
	v_subrev_nc_u32_e32 v10, s18, v1
.LBB29_2:
	s_or_b32 exec_lo, exec_lo, s3
	s_and_saveexec_b32 s3, s2
	s_cbranch_execz .LBB29_4
; %bb.3:
	v_lshl_add_u64 v[2:3], v[4:5], 2, s[4:5]
	global_load_b32 v1, v[2:3], off offset:4
	s_wait_loadcnt 0x0
	v_subrev_nc_u32_e32 v3, s18, v1
.LBB29_4:
	s_or_b32 exec_lo, exec_lo, s3
	v_cmp_lt_i64_e64 s2, s[12:13], 1
	s_and_b32 vcc_lo, exec_lo, s2
	v_cmp_eq_u32_e64 s2, 0, v0
	s_cbranch_vccnz .LBB29_37
; %bb.5:
	v_mbcnt_lo_u32_b32 v4, -1, 0
	s_load_b64 s[20:21], s[0:1], 0x38
	v_mov_b64_e32 v[8:9], 0
	v_lshlrev_b32_e32 v17, 3, v0
	v_cmp_gt_u32_e64 s3, 0x80, v0
	v_xor_b32_e32 v2, 2, v4
	v_xor_b32_e32 v1, 4, v4
	v_lshl_or_b32 v16, v4, 2, 28
	v_cmp_gt_u32_e64 s4, 64, v0
	v_cmp_gt_u32_e64 s5, 32, v0
	;; [unrolled: 1-line block ×3, first 2 shown]
	v_cmp_gt_i32_e32 vcc_lo, 32, v1
	v_cmp_gt_u32_e64 s7, 8, v0
	v_cmp_gt_u32_e64 s8, 4, v0
	;; [unrolled: 1-line block ×3, first 2 shown]
	v_dual_mov_b32 v18, 1 :: v_dual_cndmask_b32 v6, v4, v1, vcc_lo
	v_xor_b32_e32 v5, 1, v4
	v_cmp_gt_i32_e32 vcc_lo, 32, v2
	s_mov_b32 s11, 0
	s_mov_b64 s[22:23], 0xffffffff
	s_mov_b32 s19, s11
	s_ashr_i32 s24, s15, 31
	v_cndmask_b32_e32 v7, v4, v2, vcc_lo
	v_lshlrev_b32_e32 v2, 2, v6
	v_cmp_gt_i32_e32 vcc_lo, 32, v5
	v_and_b32_e32 v1, 7, v0
	s_sub_co_i32 s28, 0, s14
	v_dual_cndmask_b32 v5, v4, v5 :: v_dual_lshlrev_b32 v14, 2, v7
	s_delay_alu instid0(VALU_DEP_1)
	v_dual_mov_b32 v4, 0 :: v_dual_lshlrev_b32 v15, 2, v5
	s_branch .LBB29_7
.LBB29_6:                               ;   in Loop: Header=BB29_7 Depth=1
	s_or_b32 exec_lo, exec_lo, s10
	s_wait_dscnt 0x0
	s_barrier_signal -1
	s_barrier_wait -1
	ds_load_b32 v8, v4
	s_wait_dscnt 0x0
	s_barrier_signal -1
	s_barrier_wait -1
	v_ashrrev_i32_e32 v9, 31, v8
	s_delay_alu instid0(VALU_DEP_1)
	v_cmp_gt_i64_e32 vcc_lo, s[12:13], v[8:9]
	s_cbranch_vccz .LBB29_37
.LBB29_7:                               ; =>This Loop Header: Depth=1
                                        ;     Child Loop BB29_10 Depth 2
	v_mov_b64_e32 v[6:7], s[12:13]
	v_dual_add_nc_u32 v19, v10, v1 :: v_dual_mov_b32 v5, v3
	s_mov_b32 s29, exec_lo
	ds_store_b8 v4, v4 offset:2056
	s_wait_dscnt 0x0
	s_barrier_signal -1
	s_barrier_wait -1
	v_cmpx_lt_i32_e64 v19, v3
	s_cbranch_execz .LBB29_19
; %bb.8:                                ;   in Loop: Header=BB29_7 Depth=1
	v_mov_b64_e32 v[6:7], s[12:13]
	v_mov_b32_e32 v20, v3
	s_mov_b32 s30, 0
	s_branch .LBB29_10
.LBB29_9:                               ;   in Loop: Header=BB29_10 Depth=2
	s_or_b32 exec_lo, exec_lo, s10
	s_delay_alu instid0(VALU_DEP_1) | instskip(SKIP_1) | instid1(VALU_DEP_1)
	v_dual_mov_b32 v20, v5 :: v_dual_add_nc_u32 v19, 8, v19
	s_xor_b32 s25, vcc_lo, -1
	v_cmp_ge_i32_e64 s10, v19, v3
	s_or_b32 s10, s25, s10
	s_delay_alu instid0(SALU_CYCLE_1) | instskip(NEXT) | instid1(SALU_CYCLE_1)
	s_and_b32 s10, exec_lo, s10
	s_or_b32 s30, s10, s30
	s_delay_alu instid0(SALU_CYCLE_1)
	s_and_not1_b32 exec_lo, exec_lo, s30
	s_cbranch_execz .LBB29_18
.LBB29_10:                              ;   Parent Loop BB29_7 Depth=1
                                        ; =>  This Inner Loop Header: Depth=2
	s_wait_kmcnt 0x0
	global_load_b64 v[10:11], v19, s[20:21] scale_offset
                                        ; implicit-def: $vgpr12_vgpr13
	s_mov_b32 s10, exec_lo
	s_wait_loadcnt 0x0
	v_sub_nc_u64_e64 v[10:11], v[10:11], s[18:19]
	s_delay_alu instid0(VALU_DEP_1) | instskip(SKIP_1) | instid1(VALU_DEP_1)
	v_or_b32_e32 v5, s15, v11
	s_wait_xcnt 0x0
	v_cmpx_ne_u64_e32 0, v[4:5]
	s_xor_b32 s31, exec_lo, s10
	s_cbranch_execz .LBB29_12
; %bb.11:                               ;   in Loop: Header=BB29_10 Depth=2
	s_mov_b32 s25, s24
	v_dual_mov_b32 v23, v4 :: v_dual_ashrrev_i32 v12, 31, v11
	s_add_nc_u64 s[26:27], s[14:15], s[24:25]
	s_delay_alu instid0(SALU_CYCLE_1) | instskip(NEXT) | instid1(VALU_DEP_1)
	s_xor_b64 s[26:27], s[26:27], s[24:25]
	v_mov_b32_e32 v13, v12
	s_cvt_f32_u32 s10, s26
	s_cvt_f32_u32 s25, s27
	s_sub_nc_u64 s[36:37], 0, s[26:27]
	s_delay_alu instid0(VALU_DEP_1) | instskip(NEXT) | instid1(SALU_CYCLE_1)
	v_add_nc_u64_e32 v[10:11], v[10:11], v[12:13]
	s_fmamk_f32 s10, s25, 0x4f800000, s10
	v_mov_b32_e32 v27, v4
	s_delay_alu instid0(SALU_CYCLE_2) | instskip(NEXT) | instid1(VALU_DEP_2)
	v_s_rcp_f32 s10, s10
	v_xor_b32_e32 v22, v10, v12
	s_delay_alu instid0(VALU_DEP_3) | instskip(NEXT) | instid1(TRANS32_DEP_1)
	v_dual_mov_b32 v31, v4 :: v_dual_bitop2_b32 v26, v11, v12 bitop3:0x14
	s_mul_f32 s10, s10, 0x5f7ffffc
	s_delay_alu instid0(SALU_CYCLE_3) | instskip(NEXT) | instid1(SALU_CYCLE_3)
	s_mul_f32 s25, s10, 0x2f800000
	s_trunc_f32 s25, s25
	s_delay_alu instid0(SALU_CYCLE_3) | instskip(SKIP_1) | instid1(SALU_CYCLE_2)
	s_fmamk_f32 s10, s25, 0xcf800000, s10
	s_cvt_u32_f32 s35, s25
	s_cvt_u32_f32 s34, s10
	s_delay_alu instid0(SALU_CYCLE_3) | instskip(NEXT) | instid1(SALU_CYCLE_1)
	s_mul_u64 s[38:39], s[36:37], s[34:35]
	s_mul_hi_u32 s41, s34, s39
	s_mul_i32 s40, s34, s39
	s_mul_hi_u32 s10, s34, s38
	s_mul_i32 s33, s35, s38
	s_add_nc_u64 s[40:41], s[10:11], s[40:41]
	s_mul_hi_u32 s25, s35, s38
	s_mul_hi_u32 s42, s35, s39
	s_add_co_u32 s10, s40, s33
	s_add_co_ci_u32 s10, s41, s25
	s_mul_i32 s38, s35, s39
	s_add_co_ci_u32 s39, s42, 0
	s_delay_alu instid0(SALU_CYCLE_1) | instskip(NEXT) | instid1(SALU_CYCLE_1)
	s_add_nc_u64 s[38:39], s[10:11], s[38:39]
	s_add_co_u32 s34, s34, s38
	s_cselect_b32 s10, -1, 0
	s_delay_alu instid0(SALU_CYCLE_1) | instskip(SKIP_1) | instid1(SALU_CYCLE_1)
	s_cmp_lg_u32 s10, 0
	s_add_co_ci_u32 s35, s35, s39
	s_mul_u64 s[36:37], s[36:37], s[34:35]
	s_delay_alu instid0(SALU_CYCLE_1)
	s_mul_hi_u32 s39, s34, s37
	s_mul_i32 s38, s34, s37
	s_mul_hi_u32 s10, s34, s36
	s_mul_i32 s33, s35, s36
	s_add_nc_u64 s[38:39], s[10:11], s[38:39]
	s_mul_hi_u32 s25, s35, s36
	s_mul_hi_u32 s40, s35, s37
	s_add_co_u32 s10, s38, s33
	s_add_co_ci_u32 s10, s39, s25
	s_mul_i32 s36, s35, s37
	s_add_co_ci_u32 s37, s40, 0
	s_delay_alu instid0(SALU_CYCLE_1) | instskip(NEXT) | instid1(SALU_CYCLE_1)
	s_add_nc_u64 s[36:37], s[10:11], s[36:37]
	s_add_co_u32 s34, s34, s36
	s_cselect_b32 s10, -1, 0
	v_mul_hi_u32 v30, v22, s34
	s_cmp_lg_u32 s10, 0
	s_add_co_ci_u32 s10, s35, s37
	s_and_b64 s[36:37], s[34:35], s[22:23]
	v_mul_u64_e32 v[24:25], s[10:11], v[22:23]
	v_mul_u64_e32 v[10:11], s[36:37], v[26:27]
	;; [unrolled: 1-line block ×3, first 2 shown]
	s_delay_alu instid0(VALU_DEP_3) | instskip(NEXT) | instid1(VALU_DEP_1)
	v_add_nc_u64_e32 v[24:25], v[30:31], v[24:25]
	v_add_co_u32 v5, vcc_lo, v24, v10
	s_delay_alu instid0(VALU_DEP_2) | instskip(NEXT) | instid1(VALU_DEP_4)
	v_add_co_ci_u32_e32 v30, vcc_lo, v25, v11, vcc_lo
	v_add_co_ci_u32_e32 v29, vcc_lo, 0, v29, vcc_lo
	s_delay_alu instid0(VALU_DEP_1) | instskip(NEXT) | instid1(VALU_DEP_1)
	v_add_nc_u64_e32 v[10:11], v[30:31], v[28:29]
	v_mul_u64_e32 v[24:25], s[26:27], v[10:11]
	s_delay_alu instid0(VALU_DEP_1) | instskip(NEXT) | instid1(VALU_DEP_2)
	v_sub_nc_u32_e32 v5, v26, v25
	v_sub_co_u32 v13, vcc_lo, v22, v24
	s_delay_alu instid0(VALU_DEP_1) | instskip(NEXT) | instid1(VALU_DEP_3)
	v_sub_co_ci_u32_e64 v26, null, v26, v25, vcc_lo
	v_subrev_co_ci_u32_e64 v5, null, s27, v5, vcc_lo
	s_delay_alu instid0(VALU_DEP_3) | instskip(SKIP_1) | instid1(VALU_DEP_3)
	v_sub_co_u32 v21, s10, v13, s26
	v_add_nc_u64_e32 v[24:25], 1, v[10:11]
	v_subrev_co_ci_u32_e64 v5, null, 0, v5, s10
	s_delay_alu instid0(VALU_DEP_3) | instskip(SKIP_1) | instid1(VALU_DEP_3)
	v_cmp_le_u32_e32 vcc_lo, s26, v21
	v_cndmask_b32_e64 v21, 0, -1, vcc_lo
	v_cmp_le_u32_e32 vcc_lo, s27, v5
	v_cndmask_b32_e64 v22, 0, -1, vcc_lo
	;; [unrolled: 2-line block ×4, first 2 shown]
	v_cmp_eq_u32_e32 vcc_lo, s27, v5
	v_cndmask_b32_e32 v5, v22, v21, vcc_lo
	v_cmp_eq_u32_e32 vcc_lo, s27, v26
	v_add_nc_u64_e32 v[22:23], 2, v[10:11]
	v_cndmask_b32_e32 v13, v27, v13, vcc_lo
	s_delay_alu instid0(VALU_DEP_4) | instskip(NEXT) | instid1(VALU_DEP_3)
	v_cmp_ne_u32_e32 vcc_lo, 0, v5
	v_cndmask_b32_e32 v5, v25, v23, vcc_lo
	s_delay_alu instid0(VALU_DEP_3) | instskip(SKIP_1) | instid1(VALU_DEP_2)
	v_cmp_ne_u32_e64 s10, 0, v13
	v_dual_cndmask_b32 v13, v24, v22, vcc_lo :: v_dual_bitop2_b32 v12, s24, v12 bitop3:0x14
	v_cndmask_b32_e64 v5, v11, v5, s10
	s_delay_alu instid0(VALU_DEP_2) | instskip(NEXT) | instid1(VALU_DEP_2)
	v_dual_cndmask_b32 v10, v10, v13, s10 :: v_dual_mov_b32 v13, v12
	v_xor_b32_e32 v11, v5, v12
	s_delay_alu instid0(VALU_DEP_2) | instskip(NEXT) | instid1(VALU_DEP_1)
	v_xor_b32_e32 v10, v10, v12
	v_sub_nc_u64_e32 v[12:13], v[10:11], v[12:13]
                                        ; implicit-def: $vgpr10_vgpr11
.LBB29_12:                              ;   in Loop: Header=BB29_10 Depth=2
	s_and_not1_saveexec_b32 s10, s31
	s_cbranch_execz .LBB29_14
; %bb.13:                               ;   in Loop: Header=BB29_10 Depth=2
	v_cvt_f32_u32_e32 v5, s14
	v_mov_b32_e32 v13, v4
	s_delay_alu instid0(VALU_DEP_2) | instskip(SKIP_1) | instid1(TRANS32_DEP_1)
	v_rcp_iflag_f32_e32 v5, v5
	v_nop
	v_mul_f32_e32 v5, 0x4f7ffffe, v5
	s_delay_alu instid0(VALU_DEP_1) | instskip(NEXT) | instid1(VALU_DEP_1)
	v_cvt_u32_f32_e32 v5, v5
	v_mul_lo_u32 v11, s28, v5
	s_delay_alu instid0(VALU_DEP_1) | instskip(NEXT) | instid1(VALU_DEP_1)
	v_mul_hi_u32 v11, v5, v11
	v_add_nc_u32_e32 v5, v5, v11
	s_delay_alu instid0(VALU_DEP_1) | instskip(NEXT) | instid1(VALU_DEP_1)
	v_mul_hi_u32 v5, v10, v5
	v_mul_lo_u32 v11, v5, s14
	s_delay_alu instid0(VALU_DEP_1) | instskip(NEXT) | instid1(VALU_DEP_1)
	v_dual_sub_nc_u32 v10, v10, v11 :: v_dual_add_nc_u32 v11, 1, v5
	v_subrev_nc_u32_e32 v12, s14, v10
	v_cmp_le_u32_e32 vcc_lo, s14, v10
	s_delay_alu instid0(VALU_DEP_2) | instskip(NEXT) | instid1(VALU_DEP_1)
	v_dual_cndmask_b32 v10, v10, v12 :: v_dual_cndmask_b32 v5, v5, v11
	v_cmp_le_u32_e32 vcc_lo, s14, v10
	s_delay_alu instid0(VALU_DEP_2) | instskip(NEXT) | instid1(VALU_DEP_1)
	v_add_nc_u32_e32 v11, 1, v5
	v_cndmask_b32_e32 v12, v5, v11, vcc_lo
.LBB29_14:                              ;   in Loop: Header=BB29_10 Depth=2
	s_or_b32 exec_lo, exec_lo, s10
	s_delay_alu instid0(VALU_DEP_1) | instskip(SKIP_2) | instid1(SALU_CYCLE_1)
	v_cmp_ne_u64_e64 s10, v[12:13], v[8:9]
	v_cmp_eq_u64_e32 vcc_lo, v[12:13], v[8:9]
	s_and_saveexec_b32 s25, s10
	s_xor_b32 s10, exec_lo, s25
; %bb.15:                               ;   in Loop: Header=BB29_10 Depth=2
	v_min_i64 v[6:7], v[12:13], v[6:7]
                                        ; implicit-def: $vgpr20
; %bb.16:                               ;   in Loop: Header=BB29_10 Depth=2
	s_or_saveexec_b32 s10, s10
	v_mov_b32_e32 v5, v19
	s_xor_b32 exec_lo, exec_lo, s10
	s_cbranch_execz .LBB29_9
; %bb.17:                               ;   in Loop: Header=BB29_10 Depth=2
	v_mov_b32_e32 v5, v20
	ds_store_b8 v4, v18 offset:2056
	s_branch .LBB29_9
.LBB29_18:                              ;   in Loop: Header=BB29_7 Depth=1
	s_or_b32 exec_lo, exec_lo, s30
.LBB29_19:                              ;   in Loop: Header=BB29_7 Depth=1
	s_delay_alu instid0(SALU_CYCLE_1)
	s_or_b32 exec_lo, exec_lo, s29
	ds_bpermute_b32 v8, v2, v5
	s_wait_dscnt 0x0
	s_barrier_signal -1
	s_barrier_wait -1
	ds_load_u8 v9, v4 offset:2056
	v_min_i32_e32 v5, v8, v5
	s_wait_dscnt 0x0
	v_readfirstlane_b32 s10, v9
	ds_bpermute_b32 v8, v14, v5
	s_bitcmp1_b32 s10, 0
	s_cselect_b32 s10, -1, 0
	s_delay_alu instid0(SALU_CYCLE_1)
	s_and_b32 s25, s2, s10
	s_wait_dscnt 0x0
	v_min_i32_e32 v5, v8, v5
	ds_bpermute_b32 v8, v15, v5
	s_wait_dscnt 0x0
	v_min_i32_e32 v5, v8, v5
	ds_bpermute_b32 v10, v16, v5
	s_and_saveexec_b32 s10, s25
	s_cbranch_execz .LBB29_21
; %bb.20:                               ;   in Loop: Header=BB29_7 Depth=1
	ds_load_b64 v[8:9], v4 offset:2048
	s_wait_dscnt 0x0
	v_add_nc_u64_e32 v[8:9], 1, v[8:9]
	ds_store_b64 v4, v[8:9] offset:2048
.LBB29_21:                              ;   in Loop: Header=BB29_7 Depth=1
	s_or_b32 exec_lo, exec_lo, s10
	ds_store_b64 v17, v[6:7]
	s_wait_dscnt 0x0
	s_barrier_signal -1
	s_barrier_wait -1
	s_and_saveexec_b32 s10, s3
	s_cbranch_execz .LBB29_23
; %bb.22:                               ;   in Loop: Header=BB29_7 Depth=1
	ds_load_2addr_stride64_b64 v[6:9], v17 offset1:2
	s_wait_dscnt 0x0
	v_min_i64 v[6:7], v[8:9], v[6:7]
	ds_store_b64 v17, v[6:7]
.LBB29_23:                              ;   in Loop: Header=BB29_7 Depth=1
	s_or_b32 exec_lo, exec_lo, s10
	s_wait_dscnt 0x0
	s_barrier_signal -1
	s_barrier_wait -1
	s_and_saveexec_b32 s10, s4
	s_cbranch_execz .LBB29_25
; %bb.24:                               ;   in Loop: Header=BB29_7 Depth=1
	ds_load_2addr_stride64_b64 v[6:9], v17 offset1:1
	s_wait_dscnt 0x0
	v_min_i64 v[6:7], v[8:9], v[6:7]
	ds_store_b64 v17, v[6:7]
.LBB29_25:                              ;   in Loop: Header=BB29_7 Depth=1
	s_or_b32 exec_lo, exec_lo, s10
	s_wait_dscnt 0x0
	s_barrier_signal -1
	s_barrier_wait -1
	s_and_saveexec_b32 s10, s5
	s_cbranch_execz .LBB29_27
; %bb.26:                               ;   in Loop: Header=BB29_7 Depth=1
	ds_load_2addr_b64 v[6:9], v17 offset1:32
	s_wait_dscnt 0x0
	v_min_i64 v[6:7], v[8:9], v[6:7]
	ds_store_b64 v17, v[6:7]
.LBB29_27:                              ;   in Loop: Header=BB29_7 Depth=1
	s_or_b32 exec_lo, exec_lo, s10
	s_wait_dscnt 0x0
	s_barrier_signal -1
	s_barrier_wait -1
	s_and_saveexec_b32 s10, s6
	s_cbranch_execz .LBB29_29
; %bb.28:                               ;   in Loop: Header=BB29_7 Depth=1
	ds_load_2addr_b64 v[6:9], v17 offset1:16
	s_wait_dscnt 0x0
	v_min_i64 v[6:7], v[8:9], v[6:7]
	ds_store_b64 v17, v[6:7]
.LBB29_29:                              ;   in Loop: Header=BB29_7 Depth=1
	;; [unrolled: 12-line block ×5, first 2 shown]
	s_or_b32 exec_lo, exec_lo, s10
	s_wait_dscnt 0x0
	s_barrier_signal -1
	s_barrier_wait -1
	s_and_saveexec_b32 s10, s2
	s_cbranch_execz .LBB29_6
; %bb.36:                               ;   in Loop: Header=BB29_7 Depth=1
	ds_load_b128 v[6:9], v4
	s_wait_dscnt 0x0
	v_min_i64 v[6:7], v[8:9], v[6:7]
	ds_store_b64 v4, v[6:7]
	s_branch .LBB29_6
.LBB29_37:
	s_mov_b32 s2, exec_lo
	v_cmpx_eq_u32_e32 0, v0
	s_cbranch_execz .LBB29_39
; %bb.38:
	s_load_b32 s2, s[0:1], 0x40
	v_mov_b32_e32 v0, 0
	s_wait_xcnt 0x0
	s_load_b64 s[0:1], s[0:1], 0x48
	s_wait_kmcnt 0x0
	v_mov_b32_e32 v2, s2
	ds_load_b32 v1, v0 offset:2048
	s_lshl_b64 s[2:3], s[16:17], 2
	s_delay_alu instid0(SALU_CYCLE_1)
	s_add_nc_u64 s[2:3], s[0:1], s[2:3]
	global_store_b32 v0, v2, s[0:1]
	s_wait_dscnt 0x0
	global_store_b32 v0, v1, s[2:3] offset:4
.LBB29_39:
	s_endpgm
	.section	.rodata,"a",@progbits
	.p2align	6, 0x0
	.amdhsa_kernel _ZN9rocsparseL42csr2bsr_nnz_block_per_row_multipass_kernelILj256ELj32EilEEvT2_S1_S1_S1_S1_21rocsparse_index_base_PKT1_PKS1_S2_PS3_
		.amdhsa_group_segment_fixed_size 2064
		.amdhsa_private_segment_fixed_size 0
		.amdhsa_kernarg_size 80
		.amdhsa_user_sgpr_count 2
		.amdhsa_user_sgpr_dispatch_ptr 0
		.amdhsa_user_sgpr_queue_ptr 0
		.amdhsa_user_sgpr_kernarg_segment_ptr 1
		.amdhsa_user_sgpr_dispatch_id 0
		.amdhsa_user_sgpr_kernarg_preload_length 0
		.amdhsa_user_sgpr_kernarg_preload_offset 0
		.amdhsa_user_sgpr_private_segment_size 0
		.amdhsa_wavefront_size32 1
		.amdhsa_uses_dynamic_stack 0
		.amdhsa_enable_private_segment 0
		.amdhsa_system_sgpr_workgroup_id_x 1
		.amdhsa_system_sgpr_workgroup_id_y 0
		.amdhsa_system_sgpr_workgroup_id_z 0
		.amdhsa_system_sgpr_workgroup_info 0
		.amdhsa_system_vgpr_workitem_id 0
		.amdhsa_next_free_vgpr 32
		.amdhsa_next_free_sgpr 43
		.amdhsa_named_barrier_count 0
		.amdhsa_reserve_vcc 1
		.amdhsa_float_round_mode_32 0
		.amdhsa_float_round_mode_16_64 0
		.amdhsa_float_denorm_mode_32 3
		.amdhsa_float_denorm_mode_16_64 3
		.amdhsa_fp16_overflow 0
		.amdhsa_memory_ordered 1
		.amdhsa_forward_progress 1
		.amdhsa_inst_pref_size 17
		.amdhsa_round_robin_scheduling 0
		.amdhsa_exception_fp_ieee_invalid_op 0
		.amdhsa_exception_fp_denorm_src 0
		.amdhsa_exception_fp_ieee_div_zero 0
		.amdhsa_exception_fp_ieee_overflow 0
		.amdhsa_exception_fp_ieee_underflow 0
		.amdhsa_exception_fp_ieee_inexact 0
		.amdhsa_exception_int_div_zero 0
	.end_amdhsa_kernel
	.section	.text._ZN9rocsparseL42csr2bsr_nnz_block_per_row_multipass_kernelILj256ELj32EilEEvT2_S1_S1_S1_S1_21rocsparse_index_base_PKT1_PKS1_S2_PS3_,"axG",@progbits,_ZN9rocsparseL42csr2bsr_nnz_block_per_row_multipass_kernelILj256ELj32EilEEvT2_S1_S1_S1_S1_21rocsparse_index_base_PKT1_PKS1_S2_PS3_,comdat
.Lfunc_end29:
	.size	_ZN9rocsparseL42csr2bsr_nnz_block_per_row_multipass_kernelILj256ELj32EilEEvT2_S1_S1_S1_S1_21rocsparse_index_base_PKT1_PKS1_S2_PS3_, .Lfunc_end29-_ZN9rocsparseL42csr2bsr_nnz_block_per_row_multipass_kernelILj256ELj32EilEEvT2_S1_S1_S1_S1_21rocsparse_index_base_PKT1_PKS1_S2_PS3_
                                        ; -- End function
	.set _ZN9rocsparseL42csr2bsr_nnz_block_per_row_multipass_kernelILj256ELj32EilEEvT2_S1_S1_S1_S1_21rocsparse_index_base_PKT1_PKS1_S2_PS3_.num_vgpr, 32
	.set _ZN9rocsparseL42csr2bsr_nnz_block_per_row_multipass_kernelILj256ELj32EilEEvT2_S1_S1_S1_S1_21rocsparse_index_base_PKT1_PKS1_S2_PS3_.num_agpr, 0
	.set _ZN9rocsparseL42csr2bsr_nnz_block_per_row_multipass_kernelILj256ELj32EilEEvT2_S1_S1_S1_S1_21rocsparse_index_base_PKT1_PKS1_S2_PS3_.numbered_sgpr, 43
	.set _ZN9rocsparseL42csr2bsr_nnz_block_per_row_multipass_kernelILj256ELj32EilEEvT2_S1_S1_S1_S1_21rocsparse_index_base_PKT1_PKS1_S2_PS3_.num_named_barrier, 0
	.set _ZN9rocsparseL42csr2bsr_nnz_block_per_row_multipass_kernelILj256ELj32EilEEvT2_S1_S1_S1_S1_21rocsparse_index_base_PKT1_PKS1_S2_PS3_.private_seg_size, 0
	.set _ZN9rocsparseL42csr2bsr_nnz_block_per_row_multipass_kernelILj256ELj32EilEEvT2_S1_S1_S1_S1_21rocsparse_index_base_PKT1_PKS1_S2_PS3_.uses_vcc, 1
	.set _ZN9rocsparseL42csr2bsr_nnz_block_per_row_multipass_kernelILj256ELj32EilEEvT2_S1_S1_S1_S1_21rocsparse_index_base_PKT1_PKS1_S2_PS3_.uses_flat_scratch, 0
	.set _ZN9rocsparseL42csr2bsr_nnz_block_per_row_multipass_kernelILj256ELj32EilEEvT2_S1_S1_S1_S1_21rocsparse_index_base_PKT1_PKS1_S2_PS3_.has_dyn_sized_stack, 0
	.set _ZN9rocsparseL42csr2bsr_nnz_block_per_row_multipass_kernelILj256ELj32EilEEvT2_S1_S1_S1_S1_21rocsparse_index_base_PKT1_PKS1_S2_PS3_.has_recursion, 0
	.set _ZN9rocsparseL42csr2bsr_nnz_block_per_row_multipass_kernelILj256ELj32EilEEvT2_S1_S1_S1_S1_21rocsparse_index_base_PKT1_PKS1_S2_PS3_.has_indirect_call, 0
	.section	.AMDGPU.csdata,"",@progbits
; Kernel info:
; codeLenInByte = 2128
; TotalNumSgprs: 45
; NumVgprs: 32
; ScratchSize: 0
; MemoryBound: 0
; FloatMode: 240
; IeeeMode: 1
; LDSByteSize: 2064 bytes/workgroup (compile time only)
; SGPRBlocks: 0
; VGPRBlocks: 1
; NumSGPRsForWavesPerEU: 45
; NumVGPRsForWavesPerEU: 32
; NamedBarCnt: 0
; Occupancy: 16
; WaveLimiterHint : 0
; COMPUTE_PGM_RSRC2:SCRATCH_EN: 0
; COMPUTE_PGM_RSRC2:USER_SGPR: 2
; COMPUTE_PGM_RSRC2:TRAP_HANDLER: 0
; COMPUTE_PGM_RSRC2:TGID_X_EN: 1
; COMPUTE_PGM_RSRC2:TGID_Y_EN: 0
; COMPUTE_PGM_RSRC2:TGID_Z_EN: 0
; COMPUTE_PGM_RSRC2:TIDIG_COMP_CNT: 0
	.section	.text._ZN9rocsparseL42csr2bsr_nnz_block_per_row_multipass_kernelILj256ELj64EilEEvT2_S1_S1_S1_S1_21rocsparse_index_base_PKT1_PKS1_S2_PS3_,"axG",@progbits,_ZN9rocsparseL42csr2bsr_nnz_block_per_row_multipass_kernelILj256ELj64EilEEvT2_S1_S1_S1_S1_21rocsparse_index_base_PKT1_PKS1_S2_PS3_,comdat
	.globl	_ZN9rocsparseL42csr2bsr_nnz_block_per_row_multipass_kernelILj256ELj64EilEEvT2_S1_S1_S1_S1_21rocsparse_index_base_PKT1_PKS1_S2_PS3_ ; -- Begin function _ZN9rocsparseL42csr2bsr_nnz_block_per_row_multipass_kernelILj256ELj64EilEEvT2_S1_S1_S1_S1_21rocsparse_index_base_PKT1_PKS1_S2_PS3_
	.p2align	8
	.type	_ZN9rocsparseL42csr2bsr_nnz_block_per_row_multipass_kernelILj256ELj64EilEEvT2_S1_S1_S1_S1_21rocsparse_index_base_PKT1_PKS1_S2_PS3_,@function
_ZN9rocsparseL42csr2bsr_nnz_block_per_row_multipass_kernelILj256ELj64EilEEvT2_S1_S1_S1_S1_21rocsparse_index_base_PKT1_PKS1_S2_PS3_: ; @_ZN9rocsparseL42csr2bsr_nnz_block_per_row_multipass_kernelILj256ELj64EilEEvT2_S1_S1_S1_S1_21rocsparse_index_base_PKT1_PKS1_S2_PS3_
; %bb.0:
	s_clause 0x1
	s_load_b128 s[12:15], s[0:1], 0x18
	s_load_b64 s[2:3], s[0:1], 0x0
	s_bfe_u32 s5, ttmp6, 0x4000c
	s_and_b32 s4, ttmp6, 15
	s_add_co_i32 s5, s5, 1
	s_getreg_b32 s6, hwreg(HW_REG_IB_STS2, 6, 4)
	s_mul_i32 s5, ttmp9, s5
	v_dual_mov_b32 v3, 0 :: v_dual_lshrrev_b32 v2, 2, v0
	s_add_co_i32 s4, s4, s5
	s_cmp_eq_u32 s6, 0
	v_mov_b64_e32 v[6:7], 0
	s_cselect_b32 s16, ttmp9, s4
	s_clause 0x1
	s_load_b32 s18, s[0:1], 0x28
	s_load_b64 s[4:5], s[0:1], 0x30
	s_ashr_i32 s17, s16, 31
	v_mov_b32_e32 v10, 0
	ds_store_b64 v3, v[6:7] offset:2048
	s_wait_dscnt 0x0
	s_wait_kmcnt 0x0
	v_mad_nc_u64_u32 v[4:5], s14, s16, v[2:3]
	s_mul_i32 s6, s14, s17
	s_mul_i32 s7, s15, s16
	s_barrier_signal -1
	s_barrier_wait -1
	s_delay_alu instid0(VALU_DEP_1) | instskip(NEXT) | instid1(VALU_DEP_1)
	v_add3_u32 v5, s6, s7, v5
	v_cmp_gt_i64_e32 vcc_lo, s[2:3], v[4:5]
	v_cmp_gt_i64_e64 s2, s[14:15], v[2:3]
	s_and_b32 s2, s2, vcc_lo
	s_delay_alu instid0(SALU_CYCLE_1)
	s_and_saveexec_b32 s3, s2
	s_cbranch_execz .LBB30_2
; %bb.1:
	v_lshl_add_u64 v[6:7], v[4:5], 2, s[4:5]
	global_load_b32 v1, v[6:7], off
	s_wait_loadcnt 0x0
	v_subrev_nc_u32_e32 v10, s18, v1
.LBB30_2:
	s_or_b32 exec_lo, exec_lo, s3
	s_and_saveexec_b32 s3, s2
	s_cbranch_execz .LBB30_4
; %bb.3:
	v_lshl_add_u64 v[2:3], v[4:5], 2, s[4:5]
	global_load_b32 v1, v[2:3], off offset:4
	s_wait_loadcnt 0x0
	v_subrev_nc_u32_e32 v3, s18, v1
.LBB30_4:
	s_or_b32 exec_lo, exec_lo, s3
	v_cmp_lt_i64_e64 s2, s[12:13], 1
	s_and_b32 vcc_lo, exec_lo, s2
	v_cmp_eq_u32_e64 s2, 0, v0
	s_cbranch_vccnz .LBB30_37
; %bb.5:
	v_mbcnt_lo_u32_b32 v4, -1, 0
	s_load_b64 s[20:21], s[0:1], 0x38
	v_dual_lshlrev_b32 v2, 3, v0 :: v_dual_bitop2_b32 v1, 3, v0 bitop3:0x40
	v_cmp_gt_u32_e64 s3, 0x80, v0
	s_delay_alu instid0(VALU_DEP_3)
	v_xor_b32_e32 v6, 1, v4
	v_xor_b32_e32 v5, 2, v4
	v_cmp_gt_u32_e64 s4, 64, v0
	v_lshl_or_b32 v14, v4, 2, 12
	v_cmp_gt_u32_e64 s5, 32, v0
	v_cmp_gt_u32_e64 s6, 16, v0
	v_cmp_gt_i32_e32 vcc_lo, 32, v5
	v_cmp_gt_u32_e64 s7, 8, v0
	v_cmp_gt_u32_e64 s8, 4, v0
	;; [unrolled: 1-line block ×3, first 2 shown]
	s_mov_b32 s11, 0
	v_cndmask_b32_e32 v5, v4, v5, vcc_lo
	v_cmp_gt_i32_e32 vcc_lo, 32, v6
	s_mov_b64 s[22:23], 0xffffffff
	s_mov_b32 s19, s11
	v_mov_b32_e32 v17, 1
	s_ashr_i32 s24, s15, 31
	v_dual_cndmask_b32 v6, v4, v6 :: v_dual_lshlrev_b32 v15, 2, v5
	v_mov_b32_e32 v4, 0
	s_sub_co_i32 s28, 0, s14
	s_delay_alu instid0(VALU_DEP_2)
	v_lshlrev_b32_e32 v16, 2, v6
	v_mov_b64_e32 v[6:7], 0
	s_branch .LBB30_7
.LBB30_6:                               ;   in Loop: Header=BB30_7 Depth=1
	s_or_b32 exec_lo, exec_lo, s10
	s_wait_dscnt 0x0
	s_barrier_signal -1
	s_barrier_wait -1
	ds_load_b32 v6, v4
	s_wait_dscnt 0x0
	s_barrier_signal -1
	s_barrier_wait -1
	v_ashrrev_i32_e32 v7, 31, v6
	s_delay_alu instid0(VALU_DEP_1)
	v_cmp_gt_i64_e32 vcc_lo, s[12:13], v[6:7]
	s_cbranch_vccz .LBB30_37
.LBB30_7:                               ; =>This Loop Header: Depth=1
                                        ;     Child Loop BB30_10 Depth 2
	v_mov_b64_e32 v[8:9], s[12:13]
	v_dual_mov_b32 v5, v3 :: v_dual_add_nc_u32 v18, v10, v1
	s_mov_b32 s29, exec_lo
	ds_store_b8 v4, v4 offset:2056
	s_wait_dscnt 0x0
	s_barrier_signal -1
	s_barrier_wait -1
	v_cmpx_lt_i32_e64 v18, v3
	s_cbranch_execz .LBB30_19
; %bb.8:                                ;   in Loop: Header=BB30_7 Depth=1
	v_mov_b64_e32 v[8:9], s[12:13]
	v_mov_b32_e32 v19, v3
	s_mov_b32 s30, 0
	s_branch .LBB30_10
.LBB30_9:                               ;   in Loop: Header=BB30_10 Depth=2
	s_or_b32 exec_lo, exec_lo, s10
	s_delay_alu instid0(VALU_DEP_1) | instskip(SKIP_1) | instid1(VALU_DEP_1)
	v_dual_mov_b32 v19, v5 :: v_dual_add_nc_u32 v18, 4, v18
	s_xor_b32 s25, vcc_lo, -1
	v_cmp_ge_i32_e64 s10, v18, v3
	s_or_b32 s10, s25, s10
	s_delay_alu instid0(SALU_CYCLE_1) | instskip(NEXT) | instid1(SALU_CYCLE_1)
	s_and_b32 s10, exec_lo, s10
	s_or_b32 s30, s10, s30
	s_delay_alu instid0(SALU_CYCLE_1)
	s_and_not1_b32 exec_lo, exec_lo, s30
	s_cbranch_execz .LBB30_18
.LBB30_10:                              ;   Parent Loop BB30_7 Depth=1
                                        ; =>  This Inner Loop Header: Depth=2
	s_wait_kmcnt 0x0
	global_load_b64 v[10:11], v18, s[20:21] scale_offset
                                        ; implicit-def: $vgpr12_vgpr13
	s_mov_b32 s10, exec_lo
	s_wait_loadcnt 0x0
	v_sub_nc_u64_e64 v[10:11], v[10:11], s[18:19]
	s_delay_alu instid0(VALU_DEP_1) | instskip(SKIP_1) | instid1(VALU_DEP_1)
	v_or_b32_e32 v5, s15, v11
	s_wait_xcnt 0x0
	v_cmpx_ne_u64_e32 0, v[4:5]
	s_xor_b32 s31, exec_lo, s10
	s_cbranch_execz .LBB30_12
; %bb.11:                               ;   in Loop: Header=BB30_10 Depth=2
	s_mov_b32 s25, s24
	v_dual_mov_b32 v21, v4 :: v_dual_ashrrev_i32 v12, 31, v11
	s_add_nc_u64 s[26:27], s[14:15], s[24:25]
	v_mov_b32_e32 v29, v4
	s_xor_b64 s[26:27], s[26:27], s[24:25]
	s_delay_alu instid0(VALU_DEP_2) | instskip(SKIP_3) | instid1(VALU_DEP_1)
	v_mov_b32_e32 v13, v12
	s_cvt_f32_u32 s10, s26
	s_cvt_f32_u32 s25, s27
	s_sub_nc_u64 s[36:37], 0, s[26:27]
	v_add_nc_u64_e32 v[10:11], v[10:11], v[12:13]
	s_delay_alu instid0(SALU_CYCLE_1) | instskip(SKIP_1) | instid1(SALU_CYCLE_2)
	s_fmamk_f32 s10, s25, 0x4f800000, s10
	v_mov_b32_e32 v25, v4
	v_s_rcp_f32 s10, s10
	s_delay_alu instid0(VALU_DEP_2) | instskip(NEXT) | instid1(VALU_DEP_3)
	v_xor_b32_e32 v20, v10, v12
	v_xor_b32_e32 v24, v11, v12
	s_delay_alu instid0(TRANS32_DEP_1) | instskip(NEXT) | instid1(SALU_CYCLE_3)
	s_mul_f32 s10, s10, 0x5f7ffffc
	s_mul_f32 s25, s10, 0x2f800000
	s_delay_alu instid0(SALU_CYCLE_3) | instskip(NEXT) | instid1(SALU_CYCLE_3)
	s_trunc_f32 s25, s25
	s_fmamk_f32 s10, s25, 0xcf800000, s10
	s_cvt_u32_f32 s35, s25
	s_delay_alu instid0(SALU_CYCLE_2) | instskip(NEXT) | instid1(SALU_CYCLE_3)
	s_cvt_u32_f32 s34, s10
	s_mul_u64 s[38:39], s[36:37], s[34:35]
	s_delay_alu instid0(SALU_CYCLE_1)
	s_mul_hi_u32 s41, s34, s39
	s_mul_i32 s40, s34, s39
	s_mul_hi_u32 s10, s34, s38
	s_mul_i32 s33, s35, s38
	s_add_nc_u64 s[40:41], s[10:11], s[40:41]
	s_mul_hi_u32 s25, s35, s38
	s_mul_hi_u32 s42, s35, s39
	s_add_co_u32 s10, s40, s33
	s_add_co_ci_u32 s10, s41, s25
	s_mul_i32 s38, s35, s39
	s_add_co_ci_u32 s39, s42, 0
	s_delay_alu instid0(SALU_CYCLE_1) | instskip(NEXT) | instid1(SALU_CYCLE_1)
	s_add_nc_u64 s[38:39], s[10:11], s[38:39]
	s_add_co_u32 s34, s34, s38
	s_cselect_b32 s10, -1, 0
	s_delay_alu instid0(SALU_CYCLE_1) | instskip(SKIP_1) | instid1(SALU_CYCLE_1)
	s_cmp_lg_u32 s10, 0
	s_add_co_ci_u32 s35, s35, s39
	s_mul_u64 s[36:37], s[36:37], s[34:35]
	s_delay_alu instid0(SALU_CYCLE_1)
	s_mul_hi_u32 s39, s34, s37
	s_mul_i32 s38, s34, s37
	s_mul_hi_u32 s10, s34, s36
	s_mul_i32 s33, s35, s36
	s_add_nc_u64 s[38:39], s[10:11], s[38:39]
	s_mul_hi_u32 s25, s35, s36
	s_mul_hi_u32 s40, s35, s37
	s_add_co_u32 s10, s38, s33
	s_add_co_ci_u32 s10, s39, s25
	s_mul_i32 s36, s35, s37
	s_add_co_ci_u32 s37, s40, 0
	s_delay_alu instid0(SALU_CYCLE_1) | instskip(NEXT) | instid1(SALU_CYCLE_1)
	s_add_nc_u64 s[36:37], s[10:11], s[36:37]
	s_add_co_u32 s34, s34, s36
	s_cselect_b32 s10, -1, 0
	v_mul_hi_u32 v28, v20, s34
	s_cmp_lg_u32 s10, 0
	s_add_co_ci_u32 s10, s35, s37
	s_and_b64 s[36:37], s[34:35], s[22:23]
	v_mul_u64_e32 v[22:23], s[10:11], v[20:21]
	v_mul_u64_e32 v[10:11], s[36:37], v[24:25]
	;; [unrolled: 1-line block ×3, first 2 shown]
	s_delay_alu instid0(VALU_DEP_3) | instskip(NEXT) | instid1(VALU_DEP_1)
	v_add_nc_u64_e32 v[22:23], v[28:29], v[22:23]
	v_add_co_u32 v5, vcc_lo, v22, v10
	s_delay_alu instid0(VALU_DEP_2) | instskip(NEXT) | instid1(VALU_DEP_4)
	v_add_co_ci_u32_e32 v28, vcc_lo, v23, v11, vcc_lo
	v_add_co_ci_u32_e32 v27, vcc_lo, 0, v27, vcc_lo
	s_delay_alu instid0(VALU_DEP_1) | instskip(NEXT) | instid1(VALU_DEP_1)
	v_add_nc_u64_e32 v[10:11], v[28:29], v[26:27]
	v_mul_u64_e32 v[22:23], s[26:27], v[10:11]
	s_delay_alu instid0(VALU_DEP_1) | instskip(NEXT) | instid1(VALU_DEP_2)
	v_sub_nc_u32_e32 v5, v24, v23
	v_sub_co_u32 v13, vcc_lo, v20, v22
	s_delay_alu instid0(VALU_DEP_1) | instskip(NEXT) | instid1(VALU_DEP_3)
	v_sub_co_ci_u32_e64 v24, null, v24, v23, vcc_lo
	v_subrev_co_ci_u32_e64 v5, null, s27, v5, vcc_lo
	s_delay_alu instid0(VALU_DEP_3) | instskip(SKIP_1) | instid1(VALU_DEP_3)
	v_sub_co_u32 v20, s10, v13, s26
	v_add_nc_u64_e32 v[22:23], 1, v[10:11]
	v_subrev_co_ci_u32_e64 v5, null, 0, v5, s10
	s_delay_alu instid0(VALU_DEP_3) | instskip(SKIP_1) | instid1(VALU_DEP_3)
	v_cmp_le_u32_e32 vcc_lo, s26, v20
	v_cndmask_b32_e64 v20, 0, -1, vcc_lo
	v_cmp_le_u32_e32 vcc_lo, s27, v5
	v_cndmask_b32_e64 v21, 0, -1, vcc_lo
	;; [unrolled: 2-line block ×4, first 2 shown]
	v_cmp_eq_u32_e32 vcc_lo, s27, v5
	v_cndmask_b32_e32 v5, v21, v20, vcc_lo
	v_cmp_eq_u32_e32 vcc_lo, s27, v24
	v_add_nc_u64_e32 v[20:21], 2, v[10:11]
	v_cndmask_b32_e32 v13, v25, v13, vcc_lo
	s_delay_alu instid0(VALU_DEP_4) | instskip(NEXT) | instid1(VALU_DEP_2)
	v_cmp_ne_u32_e32 vcc_lo, 0, v5
	v_cmp_ne_u32_e64 s10, 0, v13
	s_delay_alu instid0(VALU_DEP_4) | instskip(NEXT) | instid1(VALU_DEP_1)
	v_dual_cndmask_b32 v5, v23, v21, vcc_lo :: v_dual_cndmask_b32 v13, v22, v20, vcc_lo
	v_dual_cndmask_b32 v5, v11, v5, s10 :: v_dual_bitop2_b32 v12, s24, v12 bitop3:0x14
	s_delay_alu instid0(VALU_DEP_1) | instskip(NEXT) | instid1(VALU_DEP_2)
	v_dual_cndmask_b32 v10, v10, v13, s10 :: v_dual_mov_b32 v13, v12
	v_xor_b32_e32 v11, v5, v12
	s_delay_alu instid0(VALU_DEP_2) | instskip(NEXT) | instid1(VALU_DEP_1)
	v_xor_b32_e32 v10, v10, v12
	v_sub_nc_u64_e32 v[12:13], v[10:11], v[12:13]
                                        ; implicit-def: $vgpr10_vgpr11
.LBB30_12:                              ;   in Loop: Header=BB30_10 Depth=2
	s_and_not1_saveexec_b32 s10, s31
	s_cbranch_execz .LBB30_14
; %bb.13:                               ;   in Loop: Header=BB30_10 Depth=2
	v_cvt_f32_u32_e32 v5, s14
	v_mov_b32_e32 v13, v4
	s_delay_alu instid0(VALU_DEP_2) | instskip(SKIP_1) | instid1(TRANS32_DEP_1)
	v_rcp_iflag_f32_e32 v5, v5
	v_nop
	v_mul_f32_e32 v5, 0x4f7ffffe, v5
	s_delay_alu instid0(VALU_DEP_1) | instskip(NEXT) | instid1(VALU_DEP_1)
	v_cvt_u32_f32_e32 v5, v5
	v_mul_lo_u32 v11, s28, v5
	s_delay_alu instid0(VALU_DEP_1) | instskip(NEXT) | instid1(VALU_DEP_1)
	v_mul_hi_u32 v11, v5, v11
	v_add_nc_u32_e32 v5, v5, v11
	s_delay_alu instid0(VALU_DEP_1) | instskip(NEXT) | instid1(VALU_DEP_1)
	v_mul_hi_u32 v5, v10, v5
	v_mul_lo_u32 v11, v5, s14
	s_delay_alu instid0(VALU_DEP_1) | instskip(NEXT) | instid1(VALU_DEP_1)
	v_dual_sub_nc_u32 v10, v10, v11 :: v_dual_add_nc_u32 v11, 1, v5
	v_subrev_nc_u32_e32 v12, s14, v10
	v_cmp_le_u32_e32 vcc_lo, s14, v10
	s_delay_alu instid0(VALU_DEP_2) | instskip(NEXT) | instid1(VALU_DEP_1)
	v_dual_cndmask_b32 v10, v10, v12 :: v_dual_cndmask_b32 v5, v5, v11
	v_cmp_le_u32_e32 vcc_lo, s14, v10
	s_delay_alu instid0(VALU_DEP_2) | instskip(NEXT) | instid1(VALU_DEP_1)
	v_add_nc_u32_e32 v11, 1, v5
	v_cndmask_b32_e32 v12, v5, v11, vcc_lo
.LBB30_14:                              ;   in Loop: Header=BB30_10 Depth=2
	s_or_b32 exec_lo, exec_lo, s10
	s_delay_alu instid0(VALU_DEP_1) | instskip(SKIP_2) | instid1(SALU_CYCLE_1)
	v_cmp_ne_u64_e64 s10, v[12:13], v[6:7]
	v_cmp_eq_u64_e32 vcc_lo, v[12:13], v[6:7]
	s_and_saveexec_b32 s25, s10
	s_xor_b32 s10, exec_lo, s25
; %bb.15:                               ;   in Loop: Header=BB30_10 Depth=2
	v_min_i64 v[8:9], v[12:13], v[8:9]
                                        ; implicit-def: $vgpr19
; %bb.16:                               ;   in Loop: Header=BB30_10 Depth=2
	s_or_saveexec_b32 s10, s10
	v_mov_b32_e32 v5, v18
	s_xor_b32 exec_lo, exec_lo, s10
	s_cbranch_execz .LBB30_9
; %bb.17:                               ;   in Loop: Header=BB30_10 Depth=2
	v_mov_b32_e32 v5, v19
	ds_store_b8 v4, v17 offset:2056
	s_branch .LBB30_9
.LBB30_18:                              ;   in Loop: Header=BB30_7 Depth=1
	s_or_b32 exec_lo, exec_lo, s30
.LBB30_19:                              ;   in Loop: Header=BB30_7 Depth=1
	s_delay_alu instid0(SALU_CYCLE_1)
	s_or_b32 exec_lo, exec_lo, s29
	ds_bpermute_b32 v6, v15, v5
	s_wait_dscnt 0x0
	s_barrier_signal -1
	s_barrier_wait -1
	ds_load_u8 v7, v4 offset:2056
	v_min_i32_e32 v5, v6, v5
	s_wait_dscnt 0x0
	v_readfirstlane_b32 s10, v7
	ds_bpermute_b32 v6, v16, v5
	s_bitcmp1_b32 s10, 0
	s_cselect_b32 s10, -1, 0
	s_delay_alu instid0(SALU_CYCLE_1)
	s_and_b32 s25, s2, s10
	s_wait_dscnt 0x0
	v_min_i32_e32 v5, v6, v5
	ds_bpermute_b32 v10, v14, v5
	s_and_saveexec_b32 s10, s25
	s_cbranch_execz .LBB30_21
; %bb.20:                               ;   in Loop: Header=BB30_7 Depth=1
	ds_load_b64 v[6:7], v4 offset:2048
	s_wait_dscnt 0x0
	v_add_nc_u64_e32 v[6:7], 1, v[6:7]
	ds_store_b64 v4, v[6:7] offset:2048
.LBB30_21:                              ;   in Loop: Header=BB30_7 Depth=1
	s_or_b32 exec_lo, exec_lo, s10
	ds_store_b64 v2, v[8:9]
	s_wait_dscnt 0x0
	s_barrier_signal -1
	s_barrier_wait -1
	s_and_saveexec_b32 s10, s3
	s_cbranch_execz .LBB30_23
; %bb.22:                               ;   in Loop: Header=BB30_7 Depth=1
	ds_load_2addr_stride64_b64 v[6:9], v2 offset1:2
	s_wait_dscnt 0x0
	v_min_i64 v[6:7], v[8:9], v[6:7]
	ds_store_b64 v2, v[6:7]
.LBB30_23:                              ;   in Loop: Header=BB30_7 Depth=1
	s_or_b32 exec_lo, exec_lo, s10
	s_wait_dscnt 0x0
	s_barrier_signal -1
	s_barrier_wait -1
	s_and_saveexec_b32 s10, s4
	s_cbranch_execz .LBB30_25
; %bb.24:                               ;   in Loop: Header=BB30_7 Depth=1
	ds_load_2addr_stride64_b64 v[6:9], v2 offset1:1
	s_wait_dscnt 0x0
	v_min_i64 v[6:7], v[8:9], v[6:7]
	ds_store_b64 v2, v[6:7]
.LBB30_25:                              ;   in Loop: Header=BB30_7 Depth=1
	s_or_b32 exec_lo, exec_lo, s10
	s_wait_dscnt 0x0
	s_barrier_signal -1
	s_barrier_wait -1
	s_and_saveexec_b32 s10, s5
	s_cbranch_execz .LBB30_27
; %bb.26:                               ;   in Loop: Header=BB30_7 Depth=1
	ds_load_2addr_b64 v[6:9], v2 offset1:32
	s_wait_dscnt 0x0
	v_min_i64 v[6:7], v[8:9], v[6:7]
	ds_store_b64 v2, v[6:7]
.LBB30_27:                              ;   in Loop: Header=BB30_7 Depth=1
	s_or_b32 exec_lo, exec_lo, s10
	s_wait_dscnt 0x0
	s_barrier_signal -1
	s_barrier_wait -1
	s_and_saveexec_b32 s10, s6
	s_cbranch_execz .LBB30_29
; %bb.28:                               ;   in Loop: Header=BB30_7 Depth=1
	ds_load_2addr_b64 v[6:9], v2 offset1:16
	s_wait_dscnt 0x0
	v_min_i64 v[6:7], v[8:9], v[6:7]
	ds_store_b64 v2, v[6:7]
.LBB30_29:                              ;   in Loop: Header=BB30_7 Depth=1
	;; [unrolled: 12-line block ×5, first 2 shown]
	s_or_b32 exec_lo, exec_lo, s10
	s_wait_dscnt 0x0
	s_barrier_signal -1
	s_barrier_wait -1
	s_and_saveexec_b32 s10, s2
	s_cbranch_execz .LBB30_6
; %bb.36:                               ;   in Loop: Header=BB30_7 Depth=1
	ds_load_b128 v[6:9], v4
	s_wait_dscnt 0x0
	v_min_i64 v[6:7], v[8:9], v[6:7]
	ds_store_b64 v4, v[6:7]
	s_branch .LBB30_6
.LBB30_37:
	s_mov_b32 s2, exec_lo
	v_cmpx_eq_u32_e32 0, v0
	s_cbranch_execz .LBB30_39
; %bb.38:
	s_load_b32 s2, s[0:1], 0x40
	v_mov_b32_e32 v0, 0
	s_wait_xcnt 0x0
	s_load_b64 s[0:1], s[0:1], 0x48
	s_wait_kmcnt 0x0
	v_mov_b32_e32 v2, s2
	ds_load_b32 v1, v0 offset:2048
	s_lshl_b64 s[2:3], s[16:17], 2
	s_delay_alu instid0(SALU_CYCLE_1)
	s_add_nc_u64 s[2:3], s[0:1], s[2:3]
	global_store_b32 v0, v2, s[0:1]
	s_wait_dscnt 0x0
	global_store_b32 v0, v1, s[2:3] offset:4
.LBB30_39:
	s_endpgm
	.section	.rodata,"a",@progbits
	.p2align	6, 0x0
	.amdhsa_kernel _ZN9rocsparseL42csr2bsr_nnz_block_per_row_multipass_kernelILj256ELj64EilEEvT2_S1_S1_S1_S1_21rocsparse_index_base_PKT1_PKS1_S2_PS3_
		.amdhsa_group_segment_fixed_size 2064
		.amdhsa_private_segment_fixed_size 0
		.amdhsa_kernarg_size 80
		.amdhsa_user_sgpr_count 2
		.amdhsa_user_sgpr_dispatch_ptr 0
		.amdhsa_user_sgpr_queue_ptr 0
		.amdhsa_user_sgpr_kernarg_segment_ptr 1
		.amdhsa_user_sgpr_dispatch_id 0
		.amdhsa_user_sgpr_kernarg_preload_length 0
		.amdhsa_user_sgpr_kernarg_preload_offset 0
		.amdhsa_user_sgpr_private_segment_size 0
		.amdhsa_wavefront_size32 1
		.amdhsa_uses_dynamic_stack 0
		.amdhsa_enable_private_segment 0
		.amdhsa_system_sgpr_workgroup_id_x 1
		.amdhsa_system_sgpr_workgroup_id_y 0
		.amdhsa_system_sgpr_workgroup_id_z 0
		.amdhsa_system_sgpr_workgroup_info 0
		.amdhsa_system_vgpr_workitem_id 0
		.amdhsa_next_free_vgpr 30
		.amdhsa_next_free_sgpr 43
		.amdhsa_named_barrier_count 0
		.amdhsa_reserve_vcc 1
		.amdhsa_float_round_mode_32 0
		.amdhsa_float_round_mode_16_64 0
		.amdhsa_float_denorm_mode_32 3
		.amdhsa_float_denorm_mode_16_64 3
		.amdhsa_fp16_overflow 0
		.amdhsa_memory_ordered 1
		.amdhsa_forward_progress 1
		.amdhsa_inst_pref_size 17
		.amdhsa_round_robin_scheduling 0
		.amdhsa_exception_fp_ieee_invalid_op 0
		.amdhsa_exception_fp_denorm_src 0
		.amdhsa_exception_fp_ieee_div_zero 0
		.amdhsa_exception_fp_ieee_overflow 0
		.amdhsa_exception_fp_ieee_underflow 0
		.amdhsa_exception_fp_ieee_inexact 0
		.amdhsa_exception_int_div_zero 0
	.end_amdhsa_kernel
	.section	.text._ZN9rocsparseL42csr2bsr_nnz_block_per_row_multipass_kernelILj256ELj64EilEEvT2_S1_S1_S1_S1_21rocsparse_index_base_PKT1_PKS1_S2_PS3_,"axG",@progbits,_ZN9rocsparseL42csr2bsr_nnz_block_per_row_multipass_kernelILj256ELj64EilEEvT2_S1_S1_S1_S1_21rocsparse_index_base_PKT1_PKS1_S2_PS3_,comdat
.Lfunc_end30:
	.size	_ZN9rocsparseL42csr2bsr_nnz_block_per_row_multipass_kernelILj256ELj64EilEEvT2_S1_S1_S1_S1_21rocsparse_index_base_PKT1_PKS1_S2_PS3_, .Lfunc_end30-_ZN9rocsparseL42csr2bsr_nnz_block_per_row_multipass_kernelILj256ELj64EilEEvT2_S1_S1_S1_S1_21rocsparse_index_base_PKT1_PKS1_S2_PS3_
                                        ; -- End function
	.set _ZN9rocsparseL42csr2bsr_nnz_block_per_row_multipass_kernelILj256ELj64EilEEvT2_S1_S1_S1_S1_21rocsparse_index_base_PKT1_PKS1_S2_PS3_.num_vgpr, 30
	.set _ZN9rocsparseL42csr2bsr_nnz_block_per_row_multipass_kernelILj256ELj64EilEEvT2_S1_S1_S1_S1_21rocsparse_index_base_PKT1_PKS1_S2_PS3_.num_agpr, 0
	.set _ZN9rocsparseL42csr2bsr_nnz_block_per_row_multipass_kernelILj256ELj64EilEEvT2_S1_S1_S1_S1_21rocsparse_index_base_PKT1_PKS1_S2_PS3_.numbered_sgpr, 43
	.set _ZN9rocsparseL42csr2bsr_nnz_block_per_row_multipass_kernelILj256ELj64EilEEvT2_S1_S1_S1_S1_21rocsparse_index_base_PKT1_PKS1_S2_PS3_.num_named_barrier, 0
	.set _ZN9rocsparseL42csr2bsr_nnz_block_per_row_multipass_kernelILj256ELj64EilEEvT2_S1_S1_S1_S1_21rocsparse_index_base_PKT1_PKS1_S2_PS3_.private_seg_size, 0
	.set _ZN9rocsparseL42csr2bsr_nnz_block_per_row_multipass_kernelILj256ELj64EilEEvT2_S1_S1_S1_S1_21rocsparse_index_base_PKT1_PKS1_S2_PS3_.uses_vcc, 1
	.set _ZN9rocsparseL42csr2bsr_nnz_block_per_row_multipass_kernelILj256ELj64EilEEvT2_S1_S1_S1_S1_21rocsparse_index_base_PKT1_PKS1_S2_PS3_.uses_flat_scratch, 0
	.set _ZN9rocsparseL42csr2bsr_nnz_block_per_row_multipass_kernelILj256ELj64EilEEvT2_S1_S1_S1_S1_21rocsparse_index_base_PKT1_PKS1_S2_PS3_.has_dyn_sized_stack, 0
	.set _ZN9rocsparseL42csr2bsr_nnz_block_per_row_multipass_kernelILj256ELj64EilEEvT2_S1_S1_S1_S1_21rocsparse_index_base_PKT1_PKS1_S2_PS3_.has_recursion, 0
	.set _ZN9rocsparseL42csr2bsr_nnz_block_per_row_multipass_kernelILj256ELj64EilEEvT2_S1_S1_S1_S1_21rocsparse_index_base_PKT1_PKS1_S2_PS3_.has_indirect_call, 0
	.section	.AMDGPU.csdata,"",@progbits
; Kernel info:
; codeLenInByte = 2092
; TotalNumSgprs: 45
; NumVgprs: 30
; ScratchSize: 0
; MemoryBound: 0
; FloatMode: 240
; IeeeMode: 1
; LDSByteSize: 2064 bytes/workgroup (compile time only)
; SGPRBlocks: 0
; VGPRBlocks: 1
; NumSGPRsForWavesPerEU: 45
; NumVGPRsForWavesPerEU: 30
; NamedBarCnt: 0
; Occupancy: 16
; WaveLimiterHint : 0
; COMPUTE_PGM_RSRC2:SCRATCH_EN: 0
; COMPUTE_PGM_RSRC2:USER_SGPR: 2
; COMPUTE_PGM_RSRC2:TRAP_HANDLER: 0
; COMPUTE_PGM_RSRC2:TGID_X_EN: 1
; COMPUTE_PGM_RSRC2:TGID_Y_EN: 0
; COMPUTE_PGM_RSRC2:TGID_Z_EN: 0
; COMPUTE_PGM_RSRC2:TIDIG_COMP_CNT: 0
	.section	.text._ZN9rocsparseL25csr2bsr_nnz_65_inf_kernelILj32EilEEvT1_S1_S1_S1_S1_S1_21rocsparse_index_base_PKT0_PKS1_S2_PS3_S8_,"axG",@progbits,_ZN9rocsparseL25csr2bsr_nnz_65_inf_kernelILj32EilEEvT1_S1_S1_S1_S1_S1_21rocsparse_index_base_PKT0_PKS1_S2_PS3_S8_,comdat
	.globl	_ZN9rocsparseL25csr2bsr_nnz_65_inf_kernelILj32EilEEvT1_S1_S1_S1_S1_S1_21rocsparse_index_base_PKT0_PKS1_S2_PS3_S8_ ; -- Begin function _ZN9rocsparseL25csr2bsr_nnz_65_inf_kernelILj32EilEEvT1_S1_S1_S1_S1_S1_21rocsparse_index_base_PKT0_PKS1_S2_PS3_S8_
	.p2align	8
	.type	_ZN9rocsparseL25csr2bsr_nnz_65_inf_kernelILj32EilEEvT1_S1_S1_S1_S1_S1_21rocsparse_index_base_PKT0_PKS1_S2_PS3_S8_,@function
_ZN9rocsparseL25csr2bsr_nnz_65_inf_kernelILj32EilEEvT1_S1_S1_S1_S1_S1_21rocsparse_index_base_PKT0_PKS1_S2_PS3_S8_: ; @_ZN9rocsparseL25csr2bsr_nnz_65_inf_kernelILj32EilEEvT1_S1_S1_S1_S1_S1_21rocsparse_index_base_PKT0_PKS1_S2_PS3_S8_
; %bb.0:
	s_load_b256 s[4:11], s[0:1], 0x10
	v_mov_b32_e32 v1, 0
	s_load_b64 s[2:3], s[0:1], 0x58
	s_bfe_u32 s12, ttmp6, 0x4000c
	s_and_b32 s14, ttmp6, 15
	s_add_co_i32 s12, s12, 1
	s_getreg_b32 s15, hwreg(HW_REG_IB_STS2, 6, 4)
	s_mul_i32 s12, ttmp9, s12
	s_mov_b32 s13, 0
	s_add_co_i32 s12, s14, s12
	s_load_b32 s14, s[0:1], 0x30
	s_cmp_eq_u32 s15, 0
	s_cselect_b32 s12, ttmp9, s12
	s_wait_kmcnt 0x0
	v_mul_u64_e32 v[2:3], s[10:11], v[0:1]
	s_mul_u64 s[16:17], s[12:13], s[10:11]
	s_lshl_b64 s[18:19], s[10:11], 7
	s_lshl_b64 s[16:17], s[16:17], 8
	v_cmp_lt_i64_e64 s15, s[10:11], 1
	s_add_nc_u64 s[2:3], s[2:3], s[16:17]
	v_cmp_gt_i64_e64 s30, s[10:11], 0
	s_add_nc_u64 s[16:17], s[2:3], s[18:19]
	s_and_b32 vcc_lo, exec_lo, s15
	v_lshlrev_b64_e32 v[4:5], 2, v[2:3]
	s_delay_alu instid0(VALU_DEP_1)
	v_add_nc_u64_e32 v[2:3], s[2:3], v[4:5]
	v_add_nc_u64_e32 v[4:5], s[16:17], v[4:5]
	s_cbranch_vccnz .LBB31_5
; %bb.1:
	s_clause 0x1
	s_load_b64 s[2:3], s[0:1], 0x38
	s_load_b64 s[18:19], s[0:1], 0x0
	s_mul_u64 s[16:17], s[8:9], s[12:13]
	s_delay_alu instid0(VALU_DEP_1)
	v_mov_b64_e32 v[8:9], v[4:5]
	v_add_nc_u64_e32 v[6:7], s[16:17], v[0:1]
	v_mov_b64_e32 v[10:11], v[0:1]
	v_mov_b64_e32 v[12:13], v[2:3]
	v_mov_b32_e32 v14, 0
	s_mov_b64 s[20:21], s[10:11]
	s_wait_kmcnt 0x0
	s_delay_alu instid0(VALU_DEP_4) | instskip(NEXT) | instid1(VALU_DEP_1)
	v_lshl_add_u64 v[6:7], v[6:7], 2, s[2:3]
	v_add_nc_u64_e32 v[6:7], 4, v[6:7]
	s_branch .LBB31_3
.LBB31_2:                               ;   in Loop: Header=BB31_3 Depth=1
	s_wait_xcnt 0x0
	s_or_b32 exec_lo, exec_lo, s2
	v_add_nc_u64_e32 v[12:13], 4, v[12:13]
	v_add_nc_u64_e32 v[6:7], 0x80, v[6:7]
	;; [unrolled: 1-line block ×4, first 2 shown]
	s_add_nc_u64 s[20:21], s[20:21], -1
	s_delay_alu instid0(SALU_CYCLE_1)
	s_cmp_eq_u64 s[20:21], 0
	s_cbranch_scc1 .LBB31_5
.LBB31_3:                               ; =>This Inner Loop Header: Depth=1
	s_delay_alu instid0(VALU_DEP_2)
	v_add_nc_u64_e32 v[16:17], s[16:17], v[10:11]
	v_cmp_gt_i64_e64 s2, s[8:9], v[10:11]
	global_store_b32 v[12:13], v14, off
	global_store_b32 v[8:9], v14, off
	v_cmp_gt_i64_e32 vcc_lo, s[18:19], v[16:17]
	s_and_b32 s3, vcc_lo, s2
	s_wait_xcnt 0x0
	s_and_saveexec_b32 s2, s3
	s_cbranch_execz .LBB31_2
; %bb.4:                                ;   in Loop: Header=BB31_3 Depth=1
	global_load_b64 v[16:17], v[6:7], off offset:-4
	s_wait_loadcnt 0x0
	v_subrev_nc_u32_e32 v15, s14, v16
	v_subrev_nc_u32_e32 v16, s14, v17
	global_store_b32 v[12:13], v15, off
	global_store_b32 v[8:9], v16, off
	s_branch .LBB31_2
.LBB31_5:
	s_load_b64 s[16:17], s[0:1], 0x50
	v_cmp_lt_i64_e64 s2, s[6:7], 1
	s_and_b32 vcc_lo, exec_lo, s2
	v_cmp_eq_u32_e64 s2, 31, v0
	s_cbranch_vccnz .LBB31_24
; %bb.6:
	v_mbcnt_lo_u32_b32 v1, -1, 0
	s_load_b64 s[18:19], s[0:1], 0x40
	s_mov_b32 s21, 0
	s_mov_b64 s[22:23], 0xffffffff
	s_mov_b32 s15, s21
	v_xor_b32_e32 v7, 8, v1
	v_xor_b32_e32 v6, 16, v1
	s_ashr_i32 s24, s9, 31
	s_sub_co_i32 s33, 0, s8
	s_mov_b32 s31, 0
	v_mov_b32_e32 v27, 0x7c
	v_cmp_gt_i32_e32 vcc_lo, 32, v6
	v_cndmask_b32_e32 v6, v1, v6, vcc_lo
	v_cmp_gt_i32_e32 vcc_lo, 32, v7
	s_delay_alu instid0(VALU_DEP_2) | instskip(SKIP_2) | instid1(VALU_DEP_2)
	v_dual_lshlrev_b32 v22, 2, v6 :: v_dual_bitop2_b32 v10, 1, v1 bitop3:0x14
	v_dual_cndmask_b32 v7, v1, v7, vcc_lo :: v_dual_bitop2_b32 v8, 4, v1 bitop3:0x14
	v_mov_b32_e32 v6, 0
	v_cmp_gt_i32_e32 vcc_lo, 32, v8
	s_delay_alu instid0(VALU_DEP_3) | instskip(SKIP_1) | instid1(VALU_DEP_2)
	v_dual_lshlrev_b32 v23, 2, v7 :: v_dual_bitop2_b32 v9, 2, v1 bitop3:0x14
	v_cndmask_b32_e32 v8, v1, v8, vcc_lo
	v_cmp_gt_i32_e32 vcc_lo, 32, v9
	v_cndmask_b32_e32 v9, v1, v9, vcc_lo
	v_cmp_gt_i32_e32 vcc_lo, 32, v10
	s_delay_alu instid0(VALU_DEP_2) | instskip(SKIP_2) | instid1(VALU_DEP_2)
	v_dual_lshlrev_b32 v24, 2, v8 :: v_dual_lshlrev_b32 v25, 2, v9
	v_cndmask_b32_e32 v1, v1, v10, vcc_lo
	v_mov_b64_e32 v[8:9], 0
	v_dual_mov_b32 v1, 0 :: v_dual_lshlrev_b32 v26, 2, v1
	s_branch .LBB31_8
.LBB31_7:                               ;   in Loop: Header=BB31_8 Depth=1
	ds_bpermute_b32 v8, v22, v10
	ds_bpermute_b32 v9, v22, v11
	s_wait_dscnt 0x0
	v_min_i64 v[8:9], v[8:9], v[10:11]
	ds_bpermute_b32 v10, v23, v8
	ds_bpermute_b32 v11, v23, v9
	s_wait_dscnt 0x0
	v_min_i64 v[8:9], v[10:11], v[8:9]
	;; [unrolled: 4-line block ×5, first 2 shown]
	ds_bpermute_b32 v8, v27, v8
	ds_bpermute_b32 v9, v27, v9
	s_wait_dscnt 0x0
	v_cmp_gt_i64_e32 vcc_lo, s[6:7], v[8:9]
	v_add_nc_u64_e32 v[8:9], 1, v[8:9]
	s_and_b32 s3, s2, vcc_lo
	s_delay_alu instid0(VALU_DEP_1) | instskip(SKIP_1) | instid1(VALU_DEP_1)
	v_cmp_le_i64_e32 vcc_lo, s[6:7], v[8:9]
	v_cndmask_b32_e64 v7, 0, 1, s3
	v_add_nc_u32_e32 v1, v1, v7
	s_or_b32 s31, vcc_lo, s31
	s_delay_alu instid0(SALU_CYCLE_1)
	s_and_not1_b32 exec_lo, exec_lo, s31
	s_cbranch_execz .LBB31_23
.LBB31_8:                               ; =>This Loop Header: Depth=1
                                        ;     Child Loop BB31_12 Depth 2
                                        ;       Child Loop BB31_15 Depth 3
	v_mov_b64_e32 v[10:11], s[6:7]
	s_and_not1_b32 vcc_lo, exec_lo, s30
	s_cbranch_vccnz .LBB31_7
; %bb.9:                                ;   in Loop: Header=BB31_8 Depth=1
	v_mov_b64_e32 v[10:11], s[6:7]
	s_mov_b64 s[26:27], 0
	s_branch .LBB31_12
.LBB31_10:                              ;   in Loop: Header=BB31_12 Depth=2
	s_wait_xcnt 0x0
	s_or_b32 exec_lo, exec_lo, s3
.LBB31_11:                              ;   in Loop: Header=BB31_12 Depth=2
	s_delay_alu instid0(SALU_CYCLE_1) | instskip(SKIP_1) | instid1(SALU_CYCLE_1)
	s_or_b32 exec_lo, exec_lo, s34
	s_add_nc_u64 s[26:27], s[26:27], 1
	s_cmp_eq_u64 s[26:27], s[10:11]
	s_cbranch_scc1 .LBB31_7
.LBB31_12:                              ;   Parent Loop BB31_8 Depth=1
                                        ; =>  This Loop Header: Depth=2
                                        ;       Child Loop BB31_15 Depth 3
	s_lshl_b64 s[28:29], s[26:27], 2
	s_mov_b32 s34, exec_lo
	v_add_nc_u64_e32 v[12:13], s[28:29], v[2:3]
	v_add_nc_u64_e32 v[14:15], s[28:29], v[4:5]
	s_clause 0x1
	global_load_b32 v20, v[12:13], off
	global_load_b32 v28, v[14:15], off
	s_wait_loadcnt 0x0
	v_cmpx_lt_i32_e64 v20, v28
	s_cbranch_execz .LBB31_11
; %bb.13:                               ;   in Loop: Header=BB31_12 Depth=2
	v_ashrrev_i32_e32 v21, 31, v20
	s_mov_b32 s35, 0
                                        ; implicit-def: $sgpr36
                                        ; implicit-def: $sgpr37
	s_wait_kmcnt 0x0
	s_delay_alu instid0(VALU_DEP_1)
	v_lshl_add_u64 v[14:15], v[20:21], 3, s[18:19]
	s_branch .LBB31_15
.LBB31_14:                              ;   in Loop: Header=BB31_15 Depth=3
	s_or_b32 exec_lo, exec_lo, s20
	s_delay_alu instid0(SALU_CYCLE_1) | instskip(NEXT) | instid1(SALU_CYCLE_1)
	s_and_b32 s3, exec_lo, s3
	s_or_b32 s35, s3, s35
	s_and_not1_b32 s3, s36, exec_lo
	s_and_b32 s20, s37, exec_lo
	s_delay_alu instid0(SALU_CYCLE_1)
	s_or_b32 s36, s3, s20
	s_and_not1_b32 exec_lo, exec_lo, s35
	s_cbranch_execz .LBB31_21
.LBB31_15:                              ;   Parent Loop BB31_8 Depth=1
                                        ;     Parent Loop BB31_12 Depth=2
                                        ; =>    This Inner Loop Header: Depth=3
	global_load_b64 v[16:17], v[14:15], off
                                        ; implicit-def: $vgpr18_vgpr19
	s_wait_loadcnt 0x0
	v_sub_nc_u64_e64 v[16:17], v[16:17], s[14:15]
	s_delay_alu instid0(VALU_DEP_1) | instskip(NEXT) | instid1(VALU_DEP_1)
	v_or_b32_e32 v7, s9, v17
	v_cmp_ne_u64_e32 vcc_lo, 0, v[6:7]
	v_mov_b32_e32 v7, v20
	s_wait_xcnt 0x0
	s_and_saveexec_b32 s3, vcc_lo
	s_delay_alu instid0(SALU_CYCLE_1)
	s_xor_b32 s38, exec_lo, s3
	s_cbranch_execz .LBB31_17
; %bb.16:                               ;   in Loop: Header=BB31_15 Depth=3
	s_mov_b32 s25, s24
	v_dual_mov_b32 v21, v6 :: v_dual_ashrrev_i32 v18, 31, v17
	s_add_nc_u64 s[28:29], s[8:9], s[24:25]
	s_delay_alu instid0(SALU_CYCLE_1) | instskip(NEXT) | instid1(VALU_DEP_1)
	s_xor_b64 s[28:29], s[28:29], s[24:25]
	v_mov_b32_e32 v19, v18
	s_cvt_f32_u32 s3, s28
	s_cvt_f32_u32 s20, s29
	s_sub_nc_u64 s[42:43], 0, s[28:29]
	s_delay_alu instid0(VALU_DEP_1) | instskip(NEXT) | instid1(SALU_CYCLE_1)
	v_add_nc_u64_e32 v[16:17], v[16:17], v[18:19]
	s_fmamk_f32 s3, s20, 0x4f800000, s3
	v_mov_b32_e32 v33, v6
	s_delay_alu instid0(SALU_CYCLE_2) | instskip(NEXT) | instid1(VALU_DEP_2)
	v_s_rcp_f32 s3, s3
	v_xor_b32_e32 v20, v16, v18
	s_delay_alu instid0(VALU_DEP_3) | instskip(NEXT) | instid1(TRANS32_DEP_1)
	v_dual_mov_b32 v37, v6 :: v_dual_bitop2_b32 v32, v17, v18 bitop3:0x14
	s_mul_f32 s3, s3, 0x5f7ffffc
	s_delay_alu instid0(SALU_CYCLE_3) | instskip(NEXT) | instid1(SALU_CYCLE_3)
	s_mul_f32 s20, s3, 0x2f800000
	s_trunc_f32 s20, s20
	s_delay_alu instid0(SALU_CYCLE_3) | instskip(SKIP_1) | instid1(SALU_CYCLE_2)
	s_fmamk_f32 s3, s20, 0xcf800000, s3
	s_cvt_u32_f32 s41, s20
	s_cvt_u32_f32 s40, s3
	s_delay_alu instid0(SALU_CYCLE_3) | instskip(NEXT) | instid1(SALU_CYCLE_1)
	s_mul_u64 s[44:45], s[42:43], s[40:41]
	s_mul_hi_u32 s47, s40, s45
	s_mul_i32 s46, s40, s45
	s_mul_hi_u32 s20, s40, s44
	s_mul_i32 s25, s41, s44
	s_add_nc_u64 s[46:47], s[20:21], s[46:47]
	s_mul_hi_u32 s3, s41, s44
	s_mul_hi_u32 s39, s41, s45
	s_add_co_u32 s20, s46, s25
	s_add_co_ci_u32 s20, s47, s3
	s_mul_i32 s44, s41, s45
	s_add_co_ci_u32 s45, s39, 0
	s_delay_alu instid0(SALU_CYCLE_1) | instskip(NEXT) | instid1(SALU_CYCLE_1)
	s_add_nc_u64 s[44:45], s[20:21], s[44:45]
	s_add_co_u32 s40, s40, s44
	s_cselect_b32 s3, -1, 0
	s_delay_alu instid0(SALU_CYCLE_1) | instskip(SKIP_1) | instid1(SALU_CYCLE_1)
	s_cmp_lg_u32 s3, 0
	s_add_co_ci_u32 s41, s41, s45
	s_mul_u64 s[42:43], s[42:43], s[40:41]
	s_delay_alu instid0(SALU_CYCLE_1)
	s_mul_hi_u32 s45, s40, s43
	s_mul_i32 s44, s40, s43
	s_mul_hi_u32 s20, s40, s42
	s_mul_i32 s25, s41, s42
	s_add_nc_u64 s[44:45], s[20:21], s[44:45]
	s_mul_hi_u32 s3, s41, s42
	s_mul_hi_u32 s39, s41, s43
	s_add_co_u32 s20, s44, s25
	s_add_co_ci_u32 s20, s45, s3
	s_mul_i32 s42, s41, s43
	s_add_co_ci_u32 s43, s39, 0
	s_delay_alu instid0(SALU_CYCLE_1) | instskip(NEXT) | instid1(SALU_CYCLE_1)
	s_add_nc_u64 s[42:43], s[20:21], s[42:43]
	s_add_co_u32 s40, s40, s42
	s_cselect_b32 s3, -1, 0
	v_mul_hi_u32 v36, v20, s40
	s_cmp_lg_u32 s3, 0
	s_add_co_ci_u32 s20, s41, s43
	s_and_b64 s[42:43], s[40:41], s[22:23]
	v_mul_u64_e32 v[30:31], s[20:21], v[20:21]
	v_mul_u64_e32 v[16:17], s[42:43], v[32:33]
	;; [unrolled: 1-line block ×3, first 2 shown]
	s_delay_alu instid0(VALU_DEP_3) | instskip(NEXT) | instid1(VALU_DEP_1)
	v_add_nc_u64_e32 v[30:31], v[36:37], v[30:31]
	v_add_co_u32 v16, vcc_lo, v30, v16
	s_delay_alu instid0(VALU_DEP_2) | instskip(NEXT) | instid1(VALU_DEP_4)
	v_add_co_ci_u32_e32 v36, vcc_lo, v31, v17, vcc_lo
	v_add_co_ci_u32_e32 v35, vcc_lo, 0, v35, vcc_lo
	s_delay_alu instid0(VALU_DEP_1) | instskip(NEXT) | instid1(VALU_DEP_1)
	v_add_nc_u64_e32 v[16:17], v[36:37], v[34:35]
	v_mul_u64_e32 v[30:31], s[28:29], v[16:17]
	s_delay_alu instid0(VALU_DEP_1) | instskip(NEXT) | instid1(VALU_DEP_2)
	v_sub_nc_u32_e32 v19, v32, v31
	v_sub_co_u32 v20, vcc_lo, v20, v30
	s_delay_alu instid0(VALU_DEP_1) | instskip(NEXT) | instid1(VALU_DEP_3)
	v_sub_co_ci_u32_e64 v29, null, v32, v31, vcc_lo
	v_subrev_co_ci_u32_e64 v19, null, s29, v19, vcc_lo
	s_delay_alu instid0(VALU_DEP_3) | instskip(NEXT) | instid1(VALU_DEP_1)
	v_sub_co_u32 v21, s3, v20, s28
	v_subrev_co_ci_u32_e64 v19, null, 0, v19, s3
	s_delay_alu instid0(VALU_DEP_2) | instskip(SKIP_1) | instid1(VALU_DEP_3)
	v_cmp_le_u32_e32 vcc_lo, s28, v21
	v_cndmask_b32_e64 v21, 0, -1, vcc_lo
	v_cmp_le_u32_e32 vcc_lo, s29, v19
	v_cndmask_b32_e64 v30, 0, -1, vcc_lo
	;; [unrolled: 2-line block ×4, first 2 shown]
	v_cmp_eq_u32_e32 vcc_lo, s29, v19
	v_cndmask_b32_e32 v19, v30, v21, vcc_lo
	v_cmp_eq_u32_e32 vcc_lo, s29, v29
	v_add_nc_u64_e32 v[20:21], 2, v[16:17]
	v_add_nc_u64_e32 v[30:31], 1, v[16:17]
	v_cndmask_b32_e32 v29, v33, v32, vcc_lo
	v_cmp_ne_u32_e32 vcc_lo, 0, v19
	s_delay_alu instid0(VALU_DEP_2) | instskip(NEXT) | instid1(VALU_DEP_4)
	v_cmp_ne_u32_e64 s3, 0, v29
	v_dual_cndmask_b32 v19, v31, v21 :: v_dual_cndmask_b32 v20, v30, v20
	s_delay_alu instid0(VALU_DEP_1) | instskip(NEXT) | instid1(VALU_DEP_1)
	v_dual_cndmask_b32 v17, v17, v19, s3 :: v_dual_bitop2_b32 v18, s24, v18 bitop3:0x14
	v_dual_cndmask_b32 v16, v16, v20, s3 :: v_dual_mov_b32 v19, v18
	s_delay_alu instid0(VALU_DEP_2) | instskip(NEXT) | instid1(VALU_DEP_2)
	v_xor_b32_e32 v17, v17, v18
	v_xor_b32_e32 v16, v16, v18
	s_delay_alu instid0(VALU_DEP_1)
	v_sub_nc_u64_e32 v[18:19], v[16:17], v[18:19]
                                        ; implicit-def: $vgpr16_vgpr17
.LBB31_17:                              ;   in Loop: Header=BB31_15 Depth=3
	s_and_not1_saveexec_b32 s3, s38
	s_cbranch_execz .LBB31_19
; %bb.18:                               ;   in Loop: Header=BB31_15 Depth=3
	v_cvt_f32_u32_e32 v17, s8
	s_delay_alu instid0(VALU_DEP_1) | instskip(SKIP_1) | instid1(TRANS32_DEP_1)
	v_rcp_iflag_f32_e32 v17, v17
	v_nop
	v_mul_f32_e32 v17, 0x4f7ffffe, v17
	s_delay_alu instid0(VALU_DEP_1) | instskip(NEXT) | instid1(VALU_DEP_1)
	v_cvt_u32_f32_e32 v17, v17
	v_mul_lo_u32 v18, s33, v17
	s_delay_alu instid0(VALU_DEP_1) | instskip(NEXT) | instid1(VALU_DEP_1)
	v_mul_hi_u32 v18, v17, v18
	v_add_nc_u32_e32 v17, v17, v18
	s_delay_alu instid0(VALU_DEP_1) | instskip(NEXT) | instid1(VALU_DEP_1)
	v_mul_hi_u32 v17, v16, v17
	v_mul_lo_u32 v18, v17, s8
	s_delay_alu instid0(VALU_DEP_1) | instskip(NEXT) | instid1(VALU_DEP_1)
	v_dual_sub_nc_u32 v16, v16, v18 :: v_dual_add_nc_u32 v18, 1, v17
	v_subrev_nc_u32_e32 v19, s8, v16
	v_cmp_le_u32_e32 vcc_lo, s8, v16
	s_delay_alu instid0(VALU_DEP_2) | instskip(NEXT) | instid1(VALU_DEP_4)
	v_dual_cndmask_b32 v16, v16, v19 :: v_dual_mov_b32 v19, v6
	v_cndmask_b32_e32 v17, v17, v18, vcc_lo
	s_delay_alu instid0(VALU_DEP_2) | instskip(NEXT) | instid1(VALU_DEP_2)
	v_cmp_le_u32_e32 vcc_lo, s8, v16
	v_add_nc_u32_e32 v18, 1, v17
	s_delay_alu instid0(VALU_DEP_1)
	v_cndmask_b32_e32 v18, v17, v18, vcc_lo
.LBB31_19:                              ;   in Loop: Header=BB31_15 Depth=3
	s_or_b32 exec_lo, exec_lo, s3
	s_mov_b32 s3, -1
	s_or_b32 s37, s37, exec_lo
	s_mov_b32 s20, exec_lo
                                        ; implicit-def: $vgpr20
	v_cmpx_lt_i64_e64 v[18:19], v[8:9]
	s_cbranch_execz .LBB31_14
; %bb.20:                               ;   in Loop: Header=BB31_15 Depth=3
	v_add_nc_u32_e32 v20, 1, v7
	v_add_nc_u64_e32 v[14:15], 8, v[14:15]
	s_and_not1_b32 s37, s37, exec_lo
	s_delay_alu instid0(VALU_DEP_2)
	v_cmp_ge_i32_e32 vcc_lo, v20, v28
	s_or_not1_b32 s3, vcc_lo, exec_lo
	s_branch .LBB31_14
.LBB31_21:                              ;   in Loop: Header=BB31_12 Depth=2
	s_or_b32 exec_lo, exec_lo, s35
	s_and_saveexec_b32 s3, s36
	s_delay_alu instid0(SALU_CYCLE_1)
	s_xor_b32 s3, exec_lo, s3
	s_cbranch_execz .LBB31_10
; %bb.22:                               ;   in Loop: Header=BB31_12 Depth=2
	v_min_i64 v[10:11], v[18:19], v[10:11]
	global_store_b32 v[12:13], v7, off
	s_branch .LBB31_10
.LBB31_23:
	s_or_b32 exec_lo, exec_lo, s31
.LBB31_24:
	v_cmp_gt_i64_e64 s2, s[4:5], s[12:13]
	v_cmp_eq_u32_e32 vcc_lo, 31, v0
	s_and_b32 s2, vcc_lo, s2
	s_delay_alu instid0(SALU_CYCLE_1)
	s_and_saveexec_b32 s3, s2
	s_cbranch_execz .LBB31_26
; %bb.25:
	s_wait_xcnt 0x0
	s_load_b32 s0, s[0:1], 0x48
	s_wait_kmcnt 0x0
	v_dual_mov_b32 v0, 0 :: v_dual_mov_b32 v2, s0
	s_lshl_b64 s[0:1], s[12:13], 2
	s_delay_alu instid0(SALU_CYCLE_1)
	s_add_nc_u64 s[0:1], s[16:17], s[0:1]
	s_clause 0x1
	global_store_b32 v0, v2, s[16:17]
	global_store_b32 v0, v1, s[0:1] offset:4
.LBB31_26:
	s_endpgm
	.section	.rodata,"a",@progbits
	.p2align	6, 0x0
	.amdhsa_kernel _ZN9rocsparseL25csr2bsr_nnz_65_inf_kernelILj32EilEEvT1_S1_S1_S1_S1_S1_21rocsparse_index_base_PKT0_PKS1_S2_PS3_S8_
		.amdhsa_group_segment_fixed_size 0
		.amdhsa_private_segment_fixed_size 0
		.amdhsa_kernarg_size 96
		.amdhsa_user_sgpr_count 2
		.amdhsa_user_sgpr_dispatch_ptr 0
		.amdhsa_user_sgpr_queue_ptr 0
		.amdhsa_user_sgpr_kernarg_segment_ptr 1
		.amdhsa_user_sgpr_dispatch_id 0
		.amdhsa_user_sgpr_kernarg_preload_length 0
		.amdhsa_user_sgpr_kernarg_preload_offset 0
		.amdhsa_user_sgpr_private_segment_size 0
		.amdhsa_wavefront_size32 1
		.amdhsa_uses_dynamic_stack 0
		.amdhsa_enable_private_segment 0
		.amdhsa_system_sgpr_workgroup_id_x 1
		.amdhsa_system_sgpr_workgroup_id_y 0
		.amdhsa_system_sgpr_workgroup_id_z 0
		.amdhsa_system_sgpr_workgroup_info 0
		.amdhsa_system_vgpr_workitem_id 0
		.amdhsa_next_free_vgpr 38
		.amdhsa_next_free_sgpr 48
		.amdhsa_named_barrier_count 0
		.amdhsa_reserve_vcc 1
		.amdhsa_float_round_mode_32 0
		.amdhsa_float_round_mode_16_64 0
		.amdhsa_float_denorm_mode_32 3
		.amdhsa_float_denorm_mode_16_64 3
		.amdhsa_fp16_overflow 0
		.amdhsa_memory_ordered 1
		.amdhsa_forward_progress 1
		.amdhsa_inst_pref_size 16
		.amdhsa_round_robin_scheduling 0
		.amdhsa_exception_fp_ieee_invalid_op 0
		.amdhsa_exception_fp_denorm_src 0
		.amdhsa_exception_fp_ieee_div_zero 0
		.amdhsa_exception_fp_ieee_overflow 0
		.amdhsa_exception_fp_ieee_underflow 0
		.amdhsa_exception_fp_ieee_inexact 0
		.amdhsa_exception_int_div_zero 0
	.end_amdhsa_kernel
	.section	.text._ZN9rocsparseL25csr2bsr_nnz_65_inf_kernelILj32EilEEvT1_S1_S1_S1_S1_S1_21rocsparse_index_base_PKT0_PKS1_S2_PS3_S8_,"axG",@progbits,_ZN9rocsparseL25csr2bsr_nnz_65_inf_kernelILj32EilEEvT1_S1_S1_S1_S1_S1_21rocsparse_index_base_PKT0_PKS1_S2_PS3_S8_,comdat
.Lfunc_end31:
	.size	_ZN9rocsparseL25csr2bsr_nnz_65_inf_kernelILj32EilEEvT1_S1_S1_S1_S1_S1_21rocsparse_index_base_PKT0_PKS1_S2_PS3_S8_, .Lfunc_end31-_ZN9rocsparseL25csr2bsr_nnz_65_inf_kernelILj32EilEEvT1_S1_S1_S1_S1_S1_21rocsparse_index_base_PKT0_PKS1_S2_PS3_S8_
                                        ; -- End function
	.set _ZN9rocsparseL25csr2bsr_nnz_65_inf_kernelILj32EilEEvT1_S1_S1_S1_S1_S1_21rocsparse_index_base_PKT0_PKS1_S2_PS3_S8_.num_vgpr, 38
	.set _ZN9rocsparseL25csr2bsr_nnz_65_inf_kernelILj32EilEEvT1_S1_S1_S1_S1_S1_21rocsparse_index_base_PKT0_PKS1_S2_PS3_S8_.num_agpr, 0
	.set _ZN9rocsparseL25csr2bsr_nnz_65_inf_kernelILj32EilEEvT1_S1_S1_S1_S1_S1_21rocsparse_index_base_PKT0_PKS1_S2_PS3_S8_.numbered_sgpr, 48
	.set _ZN9rocsparseL25csr2bsr_nnz_65_inf_kernelILj32EilEEvT1_S1_S1_S1_S1_S1_21rocsparse_index_base_PKT0_PKS1_S2_PS3_S8_.num_named_barrier, 0
	.set _ZN9rocsparseL25csr2bsr_nnz_65_inf_kernelILj32EilEEvT1_S1_S1_S1_S1_S1_21rocsparse_index_base_PKT0_PKS1_S2_PS3_S8_.private_seg_size, 0
	.set _ZN9rocsparseL25csr2bsr_nnz_65_inf_kernelILj32EilEEvT1_S1_S1_S1_S1_S1_21rocsparse_index_base_PKT0_PKS1_S2_PS3_S8_.uses_vcc, 1
	.set _ZN9rocsparseL25csr2bsr_nnz_65_inf_kernelILj32EilEEvT1_S1_S1_S1_S1_S1_21rocsparse_index_base_PKT0_PKS1_S2_PS3_S8_.uses_flat_scratch, 0
	.set _ZN9rocsparseL25csr2bsr_nnz_65_inf_kernelILj32EilEEvT1_S1_S1_S1_S1_S1_21rocsparse_index_base_PKT0_PKS1_S2_PS3_S8_.has_dyn_sized_stack, 0
	.set _ZN9rocsparseL25csr2bsr_nnz_65_inf_kernelILj32EilEEvT1_S1_S1_S1_S1_S1_21rocsparse_index_base_PKT0_PKS1_S2_PS3_S8_.has_recursion, 0
	.set _ZN9rocsparseL25csr2bsr_nnz_65_inf_kernelILj32EilEEvT1_S1_S1_S1_S1_S1_21rocsparse_index_base_PKT0_PKS1_S2_PS3_S8_.has_indirect_call, 0
	.section	.AMDGPU.csdata,"",@progbits
; Kernel info:
; codeLenInByte = 1932
; TotalNumSgprs: 50
; NumVgprs: 38
; ScratchSize: 0
; MemoryBound: 0
; FloatMode: 240
; IeeeMode: 1
; LDSByteSize: 0 bytes/workgroup (compile time only)
; SGPRBlocks: 0
; VGPRBlocks: 2
; NumSGPRsForWavesPerEU: 50
; NumVGPRsForWavesPerEU: 38
; NamedBarCnt: 0
; Occupancy: 16
; WaveLimiterHint : 0
; COMPUTE_PGM_RSRC2:SCRATCH_EN: 0
; COMPUTE_PGM_RSRC2:USER_SGPR: 2
; COMPUTE_PGM_RSRC2:TRAP_HANDLER: 0
; COMPUTE_PGM_RSRC2:TGID_X_EN: 1
; COMPUTE_PGM_RSRC2:TGID_Y_EN: 0
; COMPUTE_PGM_RSRC2:TGID_Z_EN: 0
; COMPUTE_PGM_RSRC2:TIDIG_COMP_CNT: 0
	.section	.text._ZN9rocsparseL36csr2bsr_nnz_compute_nnz_total_kernelILj1EilEEvT1_PKT0_PS2_,"axG",@progbits,_ZN9rocsparseL36csr2bsr_nnz_compute_nnz_total_kernelILj1EilEEvT1_PKT0_PS2_,comdat
	.globl	_ZN9rocsparseL36csr2bsr_nnz_compute_nnz_total_kernelILj1EilEEvT1_PKT0_PS2_ ; -- Begin function _ZN9rocsparseL36csr2bsr_nnz_compute_nnz_total_kernelILj1EilEEvT1_PKT0_PS2_
	.p2align	8
	.type	_ZN9rocsparseL36csr2bsr_nnz_compute_nnz_total_kernelILj1EilEEvT1_PKT0_PS2_,@function
_ZN9rocsparseL36csr2bsr_nnz_compute_nnz_total_kernelILj1EilEEvT1_PKT0_PS2_: ; @_ZN9rocsparseL36csr2bsr_nnz_compute_nnz_total_kernelILj1EilEEvT1_PKT0_PS2_
; %bb.0:
	s_bfe_u32 s2, ttmp6, 0x4000c
	s_and_b32 s3, ttmp6, 15
	s_add_co_i32 s2, s2, 1
	s_getreg_b32 s4, hwreg(HW_REG_IB_STS2, 6, 4)
	s_mul_i32 s2, ttmp9, s2
	s_delay_alu instid0(SALU_CYCLE_1) | instskip(SKIP_2) | instid1(SALU_CYCLE_1)
	s_add_co_i32 s3, s3, s2
	s_cmp_eq_u32 s4, 0
	s_cselect_b32 s2, ttmp9, s3
	s_sub_co_i32 s2, 0, s2
	s_delay_alu instid0(SALU_CYCLE_1)
	s_cmp_lg_u32 0, s2
	s_cbranch_scc1 .LBB32_2
; %bb.1:
	s_clause 0x1
	s_load_b128 s[4:7], s[0:1], 0x0
	s_load_b64 s[2:3], s[0:1], 0x10
	s_wait_kmcnt 0x0
	s_lshl_b64 s[0:1], s[4:5], 2
	s_delay_alu instid0(SALU_CYCLE_1)
	s_add_nc_u64 s[0:1], s[6:7], s[0:1]
	s_clause 0x1
	s_load_b32 s4, s[0:1], 0x0
	s_load_b32 s5, s[6:7], 0x0
	s_wait_kmcnt 0x0
	s_sub_co_i32 s0, s4, s5
	s_delay_alu instid0(SALU_CYCLE_1)
	v_dual_mov_b32 v0, 0 :: v_dual_mov_b32 v1, s0
	global_store_b32 v0, v1, s[2:3]
.LBB32_2:
	s_endpgm
	.section	.rodata,"a",@progbits
	.p2align	6, 0x0
	.amdhsa_kernel _ZN9rocsparseL36csr2bsr_nnz_compute_nnz_total_kernelILj1EilEEvT1_PKT0_PS2_
		.amdhsa_group_segment_fixed_size 0
		.amdhsa_private_segment_fixed_size 0
		.amdhsa_kernarg_size 24
		.amdhsa_user_sgpr_count 2
		.amdhsa_user_sgpr_dispatch_ptr 0
		.amdhsa_user_sgpr_queue_ptr 0
		.amdhsa_user_sgpr_kernarg_segment_ptr 1
		.amdhsa_user_sgpr_dispatch_id 0
		.amdhsa_user_sgpr_kernarg_preload_length 0
		.amdhsa_user_sgpr_kernarg_preload_offset 0
		.amdhsa_user_sgpr_private_segment_size 0
		.amdhsa_wavefront_size32 1
		.amdhsa_uses_dynamic_stack 0
		.amdhsa_enable_private_segment 0
		.amdhsa_system_sgpr_workgroup_id_x 1
		.amdhsa_system_sgpr_workgroup_id_y 0
		.amdhsa_system_sgpr_workgroup_id_z 0
		.amdhsa_system_sgpr_workgroup_info 0
		.amdhsa_system_vgpr_workitem_id 0
		.amdhsa_next_free_vgpr 2
		.amdhsa_next_free_sgpr 8
		.amdhsa_named_barrier_count 0
		.amdhsa_reserve_vcc 0
		.amdhsa_float_round_mode_32 0
		.amdhsa_float_round_mode_16_64 0
		.amdhsa_float_denorm_mode_32 3
		.amdhsa_float_denorm_mode_16_64 3
		.amdhsa_fp16_overflow 0
		.amdhsa_memory_ordered 1
		.amdhsa_forward_progress 1
		.amdhsa_inst_pref_size 2
		.amdhsa_round_robin_scheduling 0
		.amdhsa_exception_fp_ieee_invalid_op 0
		.amdhsa_exception_fp_denorm_src 0
		.amdhsa_exception_fp_ieee_div_zero 0
		.amdhsa_exception_fp_ieee_overflow 0
		.amdhsa_exception_fp_ieee_underflow 0
		.amdhsa_exception_fp_ieee_inexact 0
		.amdhsa_exception_int_div_zero 0
	.end_amdhsa_kernel
	.section	.text._ZN9rocsparseL36csr2bsr_nnz_compute_nnz_total_kernelILj1EilEEvT1_PKT0_PS2_,"axG",@progbits,_ZN9rocsparseL36csr2bsr_nnz_compute_nnz_total_kernelILj1EilEEvT1_PKT0_PS2_,comdat
.Lfunc_end32:
	.size	_ZN9rocsparseL36csr2bsr_nnz_compute_nnz_total_kernelILj1EilEEvT1_PKT0_PS2_, .Lfunc_end32-_ZN9rocsparseL36csr2bsr_nnz_compute_nnz_total_kernelILj1EilEEvT1_PKT0_PS2_
                                        ; -- End function
	.set _ZN9rocsparseL36csr2bsr_nnz_compute_nnz_total_kernelILj1EilEEvT1_PKT0_PS2_.num_vgpr, 2
	.set _ZN9rocsparseL36csr2bsr_nnz_compute_nnz_total_kernelILj1EilEEvT1_PKT0_PS2_.num_agpr, 0
	.set _ZN9rocsparseL36csr2bsr_nnz_compute_nnz_total_kernelILj1EilEEvT1_PKT0_PS2_.numbered_sgpr, 8
	.set _ZN9rocsparseL36csr2bsr_nnz_compute_nnz_total_kernelILj1EilEEvT1_PKT0_PS2_.num_named_barrier, 0
	.set _ZN9rocsparseL36csr2bsr_nnz_compute_nnz_total_kernelILj1EilEEvT1_PKT0_PS2_.private_seg_size, 0
	.set _ZN9rocsparseL36csr2bsr_nnz_compute_nnz_total_kernelILj1EilEEvT1_PKT0_PS2_.uses_vcc, 0
	.set _ZN9rocsparseL36csr2bsr_nnz_compute_nnz_total_kernelILj1EilEEvT1_PKT0_PS2_.uses_flat_scratch, 0
	.set _ZN9rocsparseL36csr2bsr_nnz_compute_nnz_total_kernelILj1EilEEvT1_PKT0_PS2_.has_dyn_sized_stack, 0
	.set _ZN9rocsparseL36csr2bsr_nnz_compute_nnz_total_kernelILj1EilEEvT1_PKT0_PS2_.has_recursion, 0
	.set _ZN9rocsparseL36csr2bsr_nnz_compute_nnz_total_kernelILj1EilEEvT1_PKT0_PS2_.has_indirect_call, 0
	.section	.AMDGPU.csdata,"",@progbits
; Kernel info:
; codeLenInByte = 148
; TotalNumSgprs: 8
; NumVgprs: 2
; ScratchSize: 0
; MemoryBound: 0
; FloatMode: 240
; IeeeMode: 1
; LDSByteSize: 0 bytes/workgroup (compile time only)
; SGPRBlocks: 0
; VGPRBlocks: 0
; NumSGPRsForWavesPerEU: 8
; NumVGPRsForWavesPerEU: 2
; NamedBarCnt: 0
; Occupancy: 16
; WaveLimiterHint : 0
; COMPUTE_PGM_RSRC2:SCRATCH_EN: 0
; COMPUTE_PGM_RSRC2:USER_SGPR: 2
; COMPUTE_PGM_RSRC2:TRAP_HANDLER: 0
; COMPUTE_PGM_RSRC2:TGID_X_EN: 1
; COMPUTE_PGM_RSRC2:TGID_Y_EN: 0
; COMPUTE_PGM_RSRC2:TGID_Z_EN: 0
; COMPUTE_PGM_RSRC2:TIDIG_COMP_CNT: 0
	.section	.text._ZN9rocsparseL39csr2bsr_nnz_block_dim_equals_one_kernelILj256EllEEvT1_21rocsparse_index_base_PKT0_S2_PS3_S6_,"axG",@progbits,_ZN9rocsparseL39csr2bsr_nnz_block_dim_equals_one_kernelILj256EllEEvT1_21rocsparse_index_base_PKT0_S2_PS3_S6_,comdat
	.globl	_ZN9rocsparseL39csr2bsr_nnz_block_dim_equals_one_kernelILj256EllEEvT1_21rocsparse_index_base_PKT0_S2_PS3_S6_ ; -- Begin function _ZN9rocsparseL39csr2bsr_nnz_block_dim_equals_one_kernelILj256EllEEvT1_21rocsparse_index_base_PKT0_S2_PS3_S6_
	.p2align	8
	.type	_ZN9rocsparseL39csr2bsr_nnz_block_dim_equals_one_kernelILj256EllEEvT1_21rocsparse_index_base_PKT0_S2_PS3_S6_,@function
_ZN9rocsparseL39csr2bsr_nnz_block_dim_equals_one_kernelILj256EllEEvT1_21rocsparse_index_base_PKT0_S2_PS3_S6_: ; @_ZN9rocsparseL39csr2bsr_nnz_block_dim_equals_one_kernelILj256EllEEvT1_21rocsparse_index_base_PKT0_S2_PS3_S6_
; %bb.0:
	s_load_b32 s4, s[0:1], 0x3c
	s_bfe_u32 s6, ttmp6, 0x4000c
	s_and_b32 s5, ttmp6, 15
	s_add_co_i32 s6, s6, 1
	s_load_b64 s[2:3], s[0:1], 0x0
	s_mul_i32 s6, ttmp9, s6
	s_getreg_b32 s7, hwreg(HW_REG_IB_STS2, 6, 4)
	s_add_co_i32 s6, s5, s6
	v_mov_b32_e32 v1, 0
	s_wait_kmcnt 0x0
	s_and_b32 s8, s4, 0xffff
	s_load_b64 s[4:5], s[0:1], 0x10
	s_cmp_eq_u32 s7, 0
	s_mov_b32 s7, 0
	s_cselect_b32 s6, ttmp9, s6
	s_delay_alu instid0(SALU_CYCLE_1) | instskip(SKIP_1) | instid1(VALU_DEP_1)
	v_mad_u32 v0, s6, s8, v0
	s_mov_b32 s8, exec_lo
	v_cmpx_ge_i64_e64 s[2:3], v[0:1]
	s_cbranch_execz .LBB33_2
; %bb.1:
	v_lshlrev_b64_e32 v[2:3], 3, v[0:1]
	s_mov_b32 s11, s7
	s_wait_kmcnt 0x0
	s_delay_alu instid0(VALU_DEP_1)
	v_add_nc_u64_e32 v[4:5], s[4:5], v[2:3]
	global_load_b64 v[4:5], v[4:5], off
	s_clause 0x2
	s_load_b32 s6, s[0:1], 0x8
	s_load_b32 s10, s[0:1], 0x18
	s_load_b64 s[12:13], s[0:1], 0x20
	s_wait_kmcnt 0x0
	s_sub_nc_u64 s[6:7], s[10:11], s[6:7]
	v_add_nc_u64_e32 v[2:3], s[12:13], v[2:3]
	s_wait_loadcnt 0x0
	v_add_nc_u64_e32 v[4:5], s[6:7], v[4:5]
	global_store_b64 v[2:3], v[4:5], off
.LBB33_2:
	s_wait_xcnt 0x0
	s_or_b32 exec_lo, exec_lo, s8
	s_delay_alu instid0(SALU_CYCLE_1)
	s_mov_b32 s6, exec_lo
	v_cmpx_eq_u32_e32 0, v0
	s_cbranch_execz .LBB33_4
; %bb.3:
	s_lshl_b64 s[2:3], s[2:3], 3
	v_mov_b32_e32 v2, 0
	s_wait_kmcnt 0x0
	s_add_nc_u64 s[2:3], s[4:5], s[2:3]
	s_clause 0x1
	s_load_b64 s[6:7], s[2:3], 0x0
	s_load_b64 s[8:9], s[4:5], 0x0
	;; [unrolled: 1-line block ×3, first 2 shown]
	s_wait_kmcnt 0x0
	s_sub_nc_u64 s[0:1], s[6:7], s[8:9]
	s_delay_alu instid0(SALU_CYCLE_1)
	v_mov_b64_e32 v[0:1], s[0:1]
	global_store_b64 v2, v[0:1], s[10:11]
.LBB33_4:
	s_endpgm
	.section	.rodata,"a",@progbits
	.p2align	6, 0x0
	.amdhsa_kernel _ZN9rocsparseL39csr2bsr_nnz_block_dim_equals_one_kernelILj256EllEEvT1_21rocsparse_index_base_PKT0_S2_PS3_S6_
		.amdhsa_group_segment_fixed_size 0
		.amdhsa_private_segment_fixed_size 0
		.amdhsa_kernarg_size 304
		.amdhsa_user_sgpr_count 2
		.amdhsa_user_sgpr_dispatch_ptr 0
		.amdhsa_user_sgpr_queue_ptr 0
		.amdhsa_user_sgpr_kernarg_segment_ptr 1
		.amdhsa_user_sgpr_dispatch_id 0
		.amdhsa_user_sgpr_kernarg_preload_length 0
		.amdhsa_user_sgpr_kernarg_preload_offset 0
		.amdhsa_user_sgpr_private_segment_size 0
		.amdhsa_wavefront_size32 1
		.amdhsa_uses_dynamic_stack 0
		.amdhsa_enable_private_segment 0
		.amdhsa_system_sgpr_workgroup_id_x 1
		.amdhsa_system_sgpr_workgroup_id_y 0
		.amdhsa_system_sgpr_workgroup_id_z 0
		.amdhsa_system_sgpr_workgroup_info 0
		.amdhsa_system_vgpr_workitem_id 0
		.amdhsa_next_free_vgpr 6
		.amdhsa_next_free_sgpr 14
		.amdhsa_named_barrier_count 0
		.amdhsa_reserve_vcc 0
		.amdhsa_float_round_mode_32 0
		.amdhsa_float_round_mode_16_64 0
		.amdhsa_float_denorm_mode_32 3
		.amdhsa_float_denorm_mode_16_64 3
		.amdhsa_fp16_overflow 0
		.amdhsa_memory_ordered 1
		.amdhsa_forward_progress 1
		.amdhsa_inst_pref_size 3
		.amdhsa_round_robin_scheduling 0
		.amdhsa_exception_fp_ieee_invalid_op 0
		.amdhsa_exception_fp_denorm_src 0
		.amdhsa_exception_fp_ieee_div_zero 0
		.amdhsa_exception_fp_ieee_overflow 0
		.amdhsa_exception_fp_ieee_underflow 0
		.amdhsa_exception_fp_ieee_inexact 0
		.amdhsa_exception_int_div_zero 0
	.end_amdhsa_kernel
	.section	.text._ZN9rocsparseL39csr2bsr_nnz_block_dim_equals_one_kernelILj256EllEEvT1_21rocsparse_index_base_PKT0_S2_PS3_S6_,"axG",@progbits,_ZN9rocsparseL39csr2bsr_nnz_block_dim_equals_one_kernelILj256EllEEvT1_21rocsparse_index_base_PKT0_S2_PS3_S6_,comdat
.Lfunc_end33:
	.size	_ZN9rocsparseL39csr2bsr_nnz_block_dim_equals_one_kernelILj256EllEEvT1_21rocsparse_index_base_PKT0_S2_PS3_S6_, .Lfunc_end33-_ZN9rocsparseL39csr2bsr_nnz_block_dim_equals_one_kernelILj256EllEEvT1_21rocsparse_index_base_PKT0_S2_PS3_S6_
                                        ; -- End function
	.set _ZN9rocsparseL39csr2bsr_nnz_block_dim_equals_one_kernelILj256EllEEvT1_21rocsparse_index_base_PKT0_S2_PS3_S6_.num_vgpr, 6
	.set _ZN9rocsparseL39csr2bsr_nnz_block_dim_equals_one_kernelILj256EllEEvT1_21rocsparse_index_base_PKT0_S2_PS3_S6_.num_agpr, 0
	.set _ZN9rocsparseL39csr2bsr_nnz_block_dim_equals_one_kernelILj256EllEEvT1_21rocsparse_index_base_PKT0_S2_PS3_S6_.numbered_sgpr, 14
	.set _ZN9rocsparseL39csr2bsr_nnz_block_dim_equals_one_kernelILj256EllEEvT1_21rocsparse_index_base_PKT0_S2_PS3_S6_.num_named_barrier, 0
	.set _ZN9rocsparseL39csr2bsr_nnz_block_dim_equals_one_kernelILj256EllEEvT1_21rocsparse_index_base_PKT0_S2_PS3_S6_.private_seg_size, 0
	.set _ZN9rocsparseL39csr2bsr_nnz_block_dim_equals_one_kernelILj256EllEEvT1_21rocsparse_index_base_PKT0_S2_PS3_S6_.uses_vcc, 0
	.set _ZN9rocsparseL39csr2bsr_nnz_block_dim_equals_one_kernelILj256EllEEvT1_21rocsparse_index_base_PKT0_S2_PS3_S6_.uses_flat_scratch, 0
	.set _ZN9rocsparseL39csr2bsr_nnz_block_dim_equals_one_kernelILj256EllEEvT1_21rocsparse_index_base_PKT0_S2_PS3_S6_.has_dyn_sized_stack, 0
	.set _ZN9rocsparseL39csr2bsr_nnz_block_dim_equals_one_kernelILj256EllEEvT1_21rocsparse_index_base_PKT0_S2_PS3_S6_.has_recursion, 0
	.set _ZN9rocsparseL39csr2bsr_nnz_block_dim_equals_one_kernelILj256EllEEvT1_21rocsparse_index_base_PKT0_S2_PS3_S6_.has_indirect_call, 0
	.section	.AMDGPU.csdata,"",@progbits
; Kernel info:
; codeLenInByte = 300
; TotalNumSgprs: 14
; NumVgprs: 6
; ScratchSize: 0
; MemoryBound: 1
; FloatMode: 240
; IeeeMode: 1
; LDSByteSize: 0 bytes/workgroup (compile time only)
; SGPRBlocks: 0
; VGPRBlocks: 0
; NumSGPRsForWavesPerEU: 14
; NumVGPRsForWavesPerEU: 6
; NamedBarCnt: 0
; Occupancy: 16
; WaveLimiterHint : 0
; COMPUTE_PGM_RSRC2:SCRATCH_EN: 0
; COMPUTE_PGM_RSRC2:USER_SGPR: 2
; COMPUTE_PGM_RSRC2:TRAP_HANDLER: 0
; COMPUTE_PGM_RSRC2:TGID_X_EN: 1
; COMPUTE_PGM_RSRC2:TGID_Y_EN: 0
; COMPUTE_PGM_RSRC2:TGID_Z_EN: 0
; COMPUTE_PGM_RSRC2:TIDIG_COMP_CNT: 0
	.section	.text._ZN9rocsparseL39csr2bsr_nnz_block_dim_equals_one_kernelILj256EllEEvT1_21rocsparse_index_base_PKT0_S2_PS3_,"axG",@progbits,_ZN9rocsparseL39csr2bsr_nnz_block_dim_equals_one_kernelILj256EllEEvT1_21rocsparse_index_base_PKT0_S2_PS3_,comdat
	.globl	_ZN9rocsparseL39csr2bsr_nnz_block_dim_equals_one_kernelILj256EllEEvT1_21rocsparse_index_base_PKT0_S2_PS3_ ; -- Begin function _ZN9rocsparseL39csr2bsr_nnz_block_dim_equals_one_kernelILj256EllEEvT1_21rocsparse_index_base_PKT0_S2_PS3_
	.p2align	8
	.type	_ZN9rocsparseL39csr2bsr_nnz_block_dim_equals_one_kernelILj256EllEEvT1_21rocsparse_index_base_PKT0_S2_PS3_,@function
_ZN9rocsparseL39csr2bsr_nnz_block_dim_equals_one_kernelILj256EllEEvT1_21rocsparse_index_base_PKT0_S2_PS3_: ; @_ZN9rocsparseL39csr2bsr_nnz_block_dim_equals_one_kernelILj256EllEEvT1_21rocsparse_index_base_PKT0_S2_PS3_
; %bb.0:
	s_load_b64 s[2:3], s[0:1], 0x0
	s_bfe_u32 s4, ttmp6, 0x4000c
	s_and_b32 s5, ttmp6, 15
	s_add_co_i32 s4, s4, 1
	s_getreg_b32 s6, hwreg(HW_REG_IB_STS2, 6, 4)
	s_mul_i32 s4, ttmp9, s4
	v_mov_b32_e32 v1, 0
	s_add_co_i32 s5, s5, s4
	s_cmp_eq_u32 s6, 0
	s_cselect_b32 s4, ttmp9, s5
	s_delay_alu instid0(SALU_CYCLE_1) | instskip(SKIP_1) | instid1(VALU_DEP_1)
	v_lshl_or_b32 v0, s4, 8, v0
	s_wait_kmcnt 0x0
	v_cmp_ge_i64_e32 vcc_lo, s[2:3], v[0:1]
	s_mov_b32 s3, 0
	s_and_saveexec_b32 s2, vcc_lo
	s_cbranch_execz .LBB34_2
; %bb.1:
	s_load_b96 s[4:6], s[0:1], 0x10
	v_lshlrev_b64_e32 v[0:1], 3, v[0:1]
	s_clause 0x1
	s_load_b64 s[8:9], s[0:1], 0x20
	s_load_b32 s2, s[0:1], 0x8
	s_wait_xcnt 0x0
	s_mov_b32 s1, s3
	s_wait_kmcnt 0x0
	v_add_nc_u64_e32 v[2:3], s[4:5], v[0:1]
	s_mov_b32 s0, s6
	v_add_nc_u64_e32 v[0:1], s[8:9], v[0:1]
	s_sub_nc_u64 s[0:1], s[0:1], s[2:3]
	global_load_b64 v[2:3], v[2:3], off
	s_wait_loadcnt 0x0
	v_add_nc_u64_e32 v[2:3], s[0:1], v[2:3]
	global_store_b64 v[0:1], v[2:3], off
.LBB34_2:
	s_endpgm
	.section	.rodata,"a",@progbits
	.p2align	6, 0x0
	.amdhsa_kernel _ZN9rocsparseL39csr2bsr_nnz_block_dim_equals_one_kernelILj256EllEEvT1_21rocsparse_index_base_PKT0_S2_PS3_
		.amdhsa_group_segment_fixed_size 0
		.amdhsa_private_segment_fixed_size 0
		.amdhsa_kernarg_size 40
		.amdhsa_user_sgpr_count 2
		.amdhsa_user_sgpr_dispatch_ptr 0
		.amdhsa_user_sgpr_queue_ptr 0
		.amdhsa_user_sgpr_kernarg_segment_ptr 1
		.amdhsa_user_sgpr_dispatch_id 0
		.amdhsa_user_sgpr_kernarg_preload_length 0
		.amdhsa_user_sgpr_kernarg_preload_offset 0
		.amdhsa_user_sgpr_private_segment_size 0
		.amdhsa_wavefront_size32 1
		.amdhsa_uses_dynamic_stack 0
		.amdhsa_enable_private_segment 0
		.amdhsa_system_sgpr_workgroup_id_x 1
		.amdhsa_system_sgpr_workgroup_id_y 0
		.amdhsa_system_sgpr_workgroup_id_z 0
		.amdhsa_system_sgpr_workgroup_info 0
		.amdhsa_system_vgpr_workitem_id 0
		.amdhsa_next_free_vgpr 4
		.amdhsa_next_free_sgpr 10
		.amdhsa_named_barrier_count 0
		.amdhsa_reserve_vcc 1
		.amdhsa_float_round_mode_32 0
		.amdhsa_float_round_mode_16_64 0
		.amdhsa_float_denorm_mode_32 3
		.amdhsa_float_denorm_mode_16_64 3
		.amdhsa_fp16_overflow 0
		.amdhsa_memory_ordered 1
		.amdhsa_forward_progress 1
		.amdhsa_inst_pref_size 2
		.amdhsa_round_robin_scheduling 0
		.amdhsa_exception_fp_ieee_invalid_op 0
		.amdhsa_exception_fp_denorm_src 0
		.amdhsa_exception_fp_ieee_div_zero 0
		.amdhsa_exception_fp_ieee_overflow 0
		.amdhsa_exception_fp_ieee_underflow 0
		.amdhsa_exception_fp_ieee_inexact 0
		.amdhsa_exception_int_div_zero 0
	.end_amdhsa_kernel
	.section	.text._ZN9rocsparseL39csr2bsr_nnz_block_dim_equals_one_kernelILj256EllEEvT1_21rocsparse_index_base_PKT0_S2_PS3_,"axG",@progbits,_ZN9rocsparseL39csr2bsr_nnz_block_dim_equals_one_kernelILj256EllEEvT1_21rocsparse_index_base_PKT0_S2_PS3_,comdat
.Lfunc_end34:
	.size	_ZN9rocsparseL39csr2bsr_nnz_block_dim_equals_one_kernelILj256EllEEvT1_21rocsparse_index_base_PKT0_S2_PS3_, .Lfunc_end34-_ZN9rocsparseL39csr2bsr_nnz_block_dim_equals_one_kernelILj256EllEEvT1_21rocsparse_index_base_PKT0_S2_PS3_
                                        ; -- End function
	.set _ZN9rocsparseL39csr2bsr_nnz_block_dim_equals_one_kernelILj256EllEEvT1_21rocsparse_index_base_PKT0_S2_PS3_.num_vgpr, 4
	.set _ZN9rocsparseL39csr2bsr_nnz_block_dim_equals_one_kernelILj256EllEEvT1_21rocsparse_index_base_PKT0_S2_PS3_.num_agpr, 0
	.set _ZN9rocsparseL39csr2bsr_nnz_block_dim_equals_one_kernelILj256EllEEvT1_21rocsparse_index_base_PKT0_S2_PS3_.numbered_sgpr, 10
	.set _ZN9rocsparseL39csr2bsr_nnz_block_dim_equals_one_kernelILj256EllEEvT1_21rocsparse_index_base_PKT0_S2_PS3_.num_named_barrier, 0
	.set _ZN9rocsparseL39csr2bsr_nnz_block_dim_equals_one_kernelILj256EllEEvT1_21rocsparse_index_base_PKT0_S2_PS3_.private_seg_size, 0
	.set _ZN9rocsparseL39csr2bsr_nnz_block_dim_equals_one_kernelILj256EllEEvT1_21rocsparse_index_base_PKT0_S2_PS3_.uses_vcc, 1
	.set _ZN9rocsparseL39csr2bsr_nnz_block_dim_equals_one_kernelILj256EllEEvT1_21rocsparse_index_base_PKT0_S2_PS3_.uses_flat_scratch, 0
	.set _ZN9rocsparseL39csr2bsr_nnz_block_dim_equals_one_kernelILj256EllEEvT1_21rocsparse_index_base_PKT0_S2_PS3_.has_dyn_sized_stack, 0
	.set _ZN9rocsparseL39csr2bsr_nnz_block_dim_equals_one_kernelILj256EllEEvT1_21rocsparse_index_base_PKT0_S2_PS3_.has_recursion, 0
	.set _ZN9rocsparseL39csr2bsr_nnz_block_dim_equals_one_kernelILj256EllEEvT1_21rocsparse_index_base_PKT0_S2_PS3_.has_indirect_call, 0
	.section	.AMDGPU.csdata,"",@progbits
; Kernel info:
; codeLenInByte = 176
; TotalNumSgprs: 12
; NumVgprs: 4
; ScratchSize: 0
; MemoryBound: 0
; FloatMode: 240
; IeeeMode: 1
; LDSByteSize: 0 bytes/workgroup (compile time only)
; SGPRBlocks: 0
; VGPRBlocks: 0
; NumSGPRsForWavesPerEU: 12
; NumVGPRsForWavesPerEU: 4
; NamedBarCnt: 0
; Occupancy: 16
; WaveLimiterHint : 0
; COMPUTE_PGM_RSRC2:SCRATCH_EN: 0
; COMPUTE_PGM_RSRC2:USER_SGPR: 2
; COMPUTE_PGM_RSRC2:TRAP_HANDLER: 0
; COMPUTE_PGM_RSRC2:TGID_X_EN: 1
; COMPUTE_PGM_RSRC2:TGID_Y_EN: 0
; COMPUTE_PGM_RSRC2:TGID_Z_EN: 0
; COMPUTE_PGM_RSRC2:TIDIG_COMP_CNT: 0
	.section	.text._ZN9rocsparseL46csr2bsr_nnz_wavefront_per_row_multipass_kernelILj256ELj16ELj4EllEEvT3_S1_S1_S1_S1_21rocsparse_index_base_PKT2_PKS1_S2_PS3_,"axG",@progbits,_ZN9rocsparseL46csr2bsr_nnz_wavefront_per_row_multipass_kernelILj256ELj16ELj4EllEEvT3_S1_S1_S1_S1_21rocsparse_index_base_PKT2_PKS1_S2_PS3_,comdat
	.globl	_ZN9rocsparseL46csr2bsr_nnz_wavefront_per_row_multipass_kernelILj256ELj16ELj4EllEEvT3_S1_S1_S1_S1_21rocsparse_index_base_PKT2_PKS1_S2_PS3_ ; -- Begin function _ZN9rocsparseL46csr2bsr_nnz_wavefront_per_row_multipass_kernelILj256ELj16ELj4EllEEvT3_S1_S1_S1_S1_21rocsparse_index_base_PKT2_PKS1_S2_PS3_
	.p2align	8
	.type	_ZN9rocsparseL46csr2bsr_nnz_wavefront_per_row_multipass_kernelILj256ELj16ELj4EllEEvT3_S1_S1_S1_S1_21rocsparse_index_base_PKT2_PKS1_S2_PS3_,@function
_ZN9rocsparseL46csr2bsr_nnz_wavefront_per_row_multipass_kernelILj256ELj16ELj4EllEEvT3_S1_S1_S1_S1_21rocsparse_index_base_PKT2_PKS1_S2_PS3_: ; @_ZN9rocsparseL46csr2bsr_nnz_wavefront_per_row_multipass_kernelILj256ELj16ELj4EllEEvT3_S1_S1_S1_S1_21rocsparse_index_base_PKT2_PKS1_S2_PS3_
; %bb.0:
	s_bfe_u32 s2, ttmp6, 0x4000c
	s_clause 0x1
	s_load_b96 s[8:10], s[0:1], 0x20
	s_load_b64 s[14:15], s[0:1], 0x30
	s_add_co_i32 s2, s2, 1
	s_and_b32 s3, ttmp6, 15
	s_mul_i32 s2, ttmp9, s2
	s_getreg_b32 s4, hwreg(HW_REG_IB_STS2, 6, 4)
	s_add_co_i32 s3, s3, s2
	s_cmp_eq_u32 s4, 0
	v_dual_mov_b32 v7, 0 :: v_dual_lshrrev_b32 v20, 4, v0
	s_cselect_b32 s12, ttmp9, s3
	v_bfe_u32 v6, v0, 2, 2
	s_ashr_i32 s13, s12, 31
	v_mov_b64_e32 v[10:11], 0
	s_lshl_b64 s[2:3], s[12:13], 4
	s_delay_alu instid0(SALU_CYCLE_1) | instskip(SKIP_3) | instid1(VALU_DEP_1)
	v_dual_lshlrev_b32 v21, 3, v20 :: v_dual_bitop2_b32 v1, s2, v20 bitop3:0x54
	s_mov_b32 s11, 0
	s_load_b128 s[4:7], s[0:1], 0x10
	s_wait_kmcnt 0x0
	v_mad_nc_u64_u32 v[4:5], v1, s8, v[6:7]
	s_delay_alu instid0(VALU_DEP_1) | instskip(SKIP_1) | instid1(VALU_DEP_1)
	v_mad_u32 v2, s3, s8, v5
	s_load_b64 s[2:3], s[0:1], 0x0
	v_mad_u32 v5, v1, s9, v2
	v_mov_b64_e32 v[2:3], 0
	ds_store_b64 v21, v[2:3]
	s_wait_dscnt 0x0
	s_barrier_signal -1
	s_wait_kmcnt 0x0
	v_cmp_gt_i64_e32 vcc_lo, s[2:3], v[4:5]
	v_cmp_gt_i64_e64 s2, s[8:9], v[6:7]
	s_barrier_wait -1
	s_and_b32 s2, s2, vcc_lo
	s_delay_alu instid0(SALU_CYCLE_1)
	s_and_saveexec_b32 s3, s2
	s_cbranch_execz .LBB35_2
; %bb.1:
	v_lshl_add_u64 v[6:7], v[4:5], 3, s[14:15]
	global_load_b64 v[6:7], v[6:7], off
	s_wait_loadcnt 0x0
	v_sub_nc_u64_e64 v[10:11], v[6:7], s[10:11]
.LBB35_2:
	s_or_b32 exec_lo, exec_lo, s3
	s_and_saveexec_b32 s3, s2
	s_cbranch_execz .LBB35_4
; %bb.3:
	v_lshl_add_u64 v[2:3], v[4:5], 3, s[14:15]
	global_load_b64 v[2:3], v[2:3], off offset:8
	s_wait_loadcnt 0x0
	v_sub_nc_u64_e64 v[2:3], v[2:3], s[10:11]
.LBB35_4:
	s_or_b32 exec_lo, exec_lo, s3
	v_cmp_lt_i64_e64 s2, s[6:7], 1
	v_and_b32_e32 v22, 15, v0
	s_and_b32 vcc_lo, exec_lo, s2
	s_delay_alu instid0(VALU_DEP_1)
	v_cmp_eq_u32_e64 s2, 0, v22
	s_cbranch_vccnz .LBB35_22
; %bb.5:
	v_mbcnt_lo_u32_b32 v5, -1, 0
	v_mov_b32_e32 v4, 0
	s_load_b64 s[14:15], s[0:1], 0x38
	s_mov_b32 s17, 0
	s_mov_b64 s[18:19], 0xffffffff
	v_xor_b32_e32 v6, 2, v5
	v_dual_lshlrev_b32 v12, 2, v5 :: v_dual_bitop2_b32 v9, 4, v5 bitop3:0x14
	v_dual_mov_b32 v1, v4 :: v_dual_bitop2_b32 v0, 3, v0 bitop3:0x40
	s_delay_alu instid0(VALU_DEP_3) | instskip(SKIP_1) | instid1(VALU_DEP_4)
	v_cmp_gt_i32_e32 vcc_lo, 32, v6
	v_xor_b32_e32 v7, 1, v5
	v_or_b32_e32 v28, 60, v12
	s_mov_b32 s11, s17
	s_ashr_i32 s20, s9, 31
	v_cndmask_b32_e32 v6, v5, v6, vcc_lo
	v_cmp_gt_i32_e32 vcc_lo, 32, v7
	v_xor_b32_e32 v8, 8, v5
	s_sub_co_i32 s24, 0, s8
	s_mov_b32 s13, 0
	v_dual_mov_b32 v29, 1 :: v_dual_cndmask_b32 v7, v5, v7, vcc_lo
	s_delay_alu instid0(VALU_DEP_2) | instskip(NEXT) | instid1(VALU_DEP_2)
	v_cmp_gt_i32_e32 vcc_lo, 32, v8
	v_dual_lshlrev_b32 v23, 2, v6 :: v_dual_lshlrev_b32 v24, 2, v7
	v_cndmask_b32_e32 v8, v5, v8, vcc_lo
	v_cmp_gt_i32_e32 vcc_lo, 32, v9
	s_delay_alu instid0(VALU_DEP_2) | instskip(SKIP_1) | instid1(VALU_DEP_2)
	v_dual_cndmask_b32 v5, v5, v9 :: v_dual_lshlrev_b32 v26, 2, v8
	v_mov_b64_e32 v[8:9], 0
	v_dual_lshlrev_b32 v27, 2, v5 :: v_dual_bitop2_b32 v25, 12, v12 bitop3:0x54
	s_branch .LBB35_7
.LBB35_6:                               ;   in Loop: Header=BB35_7 Depth=1
	s_or_b32 exec_lo, exec_lo, s3
	ds_bpermute_b32 v8, v26, v6
	ds_bpermute_b32 v9, v26, v7
	s_wait_dscnt 0x0
	v_min_i64 v[6:7], v[8:9], v[6:7]
	ds_bpermute_b32 v8, v27, v6
	ds_bpermute_b32 v9, v27, v7
	s_wait_dscnt 0x0
	v_min_i64 v[6:7], v[8:9], v[6:7]
	;; [unrolled: 4-line block ×4, first 2 shown]
	ds_bpermute_b32 v8, v28, v6
	ds_bpermute_b32 v9, v28, v7
	s_wait_dscnt 0x0
	v_cmp_le_i64_e32 vcc_lo, s[6:7], v[8:9]
	s_or_b32 s13, vcc_lo, s13
	s_delay_alu instid0(SALU_CYCLE_1)
	s_and_not1_b32 exec_lo, exec_lo, s13
	s_cbranch_execz .LBB35_21
.LBB35_7:                               ; =>This Loop Header: Depth=1
                                        ;     Child Loop BB35_10 Depth 2
	v_add_nc_u64_e32 v[10:11], v[10:11], v[0:1]
	v_mov_b64_e32 v[6:7], s[6:7]
	v_mov_b64_e32 v[16:17], v[2:3]
	s_mov_b32 s25, exec_lo
	ds_store_b8 v20, v4 offset:128
	s_wait_dscnt 0x0
	v_cmpx_lt_i64_e64 v[10:11], v[2:3]
	s_cbranch_execz .LBB35_19
; %bb.8:                                ;   in Loop: Header=BB35_7 Depth=1
	v_mov_b64_e32 v[6:7], s[6:7]
	v_mov_b64_e32 v[14:15], v[2:3]
	s_wait_kmcnt 0x0
	v_lshl_add_u64 v[12:13], v[10:11], 3, s[14:15]
	s_mov_b32 s26, 0
	s_branch .LBB35_10
.LBB35_9:                               ;   in Loop: Header=BB35_10 Depth=2
	s_or_b32 exec_lo, exec_lo, s3
	v_add_nc_u64_e32 v[10:11], 4, v[10:11]
	s_xor_b32 s16, vcc_lo, -1
	v_add_nc_u64_e32 v[12:13], 32, v[12:13]
	v_mov_b64_e32 v[14:15], v[16:17]
	s_delay_alu instid0(VALU_DEP_3) | instskip(SKIP_1) | instid1(SALU_CYCLE_1)
	v_cmp_ge_i64_e64 s3, v[10:11], v[2:3]
	s_or_b32 s3, s16, s3
	s_and_b32 s3, exec_lo, s3
	s_delay_alu instid0(SALU_CYCLE_1) | instskip(NEXT) | instid1(SALU_CYCLE_1)
	s_or_b32 s26, s3, s26
	s_and_not1_b32 exec_lo, exec_lo, s26
	s_cbranch_execz .LBB35_18
.LBB35_10:                              ;   Parent Loop BB35_7 Depth=1
                                        ; =>  This Inner Loop Header: Depth=2
	global_load_b64 v[16:17], v[12:13], off
                                        ; implicit-def: $vgpr18_vgpr19
	s_mov_b32 s3, exec_lo
	s_wait_loadcnt 0x0
	v_sub_nc_u64_e64 v[16:17], v[16:17], s[10:11]
	s_delay_alu instid0(VALU_DEP_1) | instskip(SKIP_1) | instid1(VALU_DEP_1)
	v_or_b32_e32 v5, s9, v17
	s_wait_xcnt 0x0
	v_cmpx_ne_u64_e32 0, v[4:5]
	s_xor_b32 s27, exec_lo, s3
	s_cbranch_execz .LBB35_12
; %bb.11:                               ;   in Loop: Header=BB35_10 Depth=2
	s_mov_b32 s21, s20
	v_dual_mov_b32 v31, v4 :: v_dual_ashrrev_i32 v18, 31, v17
	s_add_nc_u64 s[22:23], s[8:9], s[20:21]
	s_delay_alu instid0(SALU_CYCLE_1) | instskip(NEXT) | instid1(VALU_DEP_1)
	s_xor_b64 s[22:23], s[22:23], s[20:21]
	v_mov_b32_e32 v19, v18
	s_cvt_f32_u32 s3, s22
	s_cvt_f32_u32 s16, s23
	s_sub_nc_u64 s[30:31], 0, s[22:23]
	s_delay_alu instid0(VALU_DEP_1) | instskip(NEXT) | instid1(SALU_CYCLE_1)
	v_add_nc_u64_e32 v[16:17], v[16:17], v[18:19]
	s_fmamk_f32 s3, s16, 0x4f800000, s3
	v_mov_b32_e32 v35, v4
	s_delay_alu instid0(SALU_CYCLE_2) | instskip(NEXT) | instid1(VALU_DEP_2)
	v_s_rcp_f32 s3, s3
	v_xor_b32_e32 v30, v16, v18
	s_delay_alu instid0(VALU_DEP_3) | instskip(SKIP_1) | instid1(TRANS32_DEP_1)
	v_dual_mov_b32 v39, v4 :: v_dual_bitop2_b32 v34, v17, v18 bitop3:0x14
	v_xor_b32_e32 v18, s20, v18
	s_mul_f32 s3, s3, 0x5f7ffffc
	s_delay_alu instid0(SALU_CYCLE_3) | instskip(NEXT) | instid1(SALU_CYCLE_3)
	s_mul_f32 s16, s3, 0x2f800000
	s_trunc_f32 s16, s16
	s_delay_alu instid0(SALU_CYCLE_3) | instskip(SKIP_1) | instid1(SALU_CYCLE_2)
	s_fmamk_f32 s3, s16, 0xcf800000, s3
	s_cvt_u32_f32 s29, s16
	s_cvt_u32_f32 s28, s3
	s_delay_alu instid0(SALU_CYCLE_3) | instskip(NEXT) | instid1(SALU_CYCLE_1)
	s_mul_u64 s[34:35], s[30:31], s[28:29]
	s_mul_hi_u32 s37, s28, s35
	s_mul_i32 s36, s28, s35
	s_mul_hi_u32 s16, s28, s34
	s_mul_i32 s21, s29, s34
	s_add_nc_u64 s[36:37], s[16:17], s[36:37]
	s_mul_hi_u32 s3, s29, s34
	s_mul_hi_u32 s33, s29, s35
	s_add_co_u32 s16, s36, s21
	s_add_co_ci_u32 s16, s37, s3
	s_mul_i32 s34, s29, s35
	s_add_co_ci_u32 s35, s33, 0
	s_delay_alu instid0(SALU_CYCLE_1) | instskip(NEXT) | instid1(SALU_CYCLE_1)
	s_add_nc_u64 s[34:35], s[16:17], s[34:35]
	s_add_co_u32 s28, s28, s34
	s_cselect_b32 s3, -1, 0
	s_delay_alu instid0(SALU_CYCLE_1) | instskip(SKIP_1) | instid1(SALU_CYCLE_1)
	s_cmp_lg_u32 s3, 0
	s_add_co_ci_u32 s29, s29, s35
	s_mul_u64 s[30:31], s[30:31], s[28:29]
	s_delay_alu instid0(SALU_CYCLE_1)
	s_mul_hi_u32 s35, s28, s31
	s_mul_i32 s34, s28, s31
	s_mul_hi_u32 s16, s28, s30
	s_mul_i32 s21, s29, s30
	s_add_nc_u64 s[34:35], s[16:17], s[34:35]
	s_mul_hi_u32 s3, s29, s30
	s_mul_hi_u32 s33, s29, s31
	s_add_co_u32 s16, s34, s21
	s_add_co_ci_u32 s16, s35, s3
	s_mul_i32 s30, s29, s31
	s_add_co_ci_u32 s31, s33, 0
	s_delay_alu instid0(SALU_CYCLE_1) | instskip(NEXT) | instid1(SALU_CYCLE_1)
	s_add_nc_u64 s[30:31], s[16:17], s[30:31]
	s_add_co_u32 s28, s28, s30
	s_cselect_b32 s3, -1, 0
	v_mul_hi_u32 v38, v30, s28
	s_cmp_lg_u32 s3, 0
	s_add_co_ci_u32 s16, s29, s31
	s_and_b64 s[30:31], s[28:29], s[18:19]
	v_mul_u64_e32 v[32:33], s[16:17], v[30:31]
	v_mul_u64_e32 v[16:17], s[30:31], v[34:35]
	;; [unrolled: 1-line block ×3, first 2 shown]
	s_delay_alu instid0(VALU_DEP_3) | instskip(NEXT) | instid1(VALU_DEP_1)
	v_add_nc_u64_e32 v[32:33], v[38:39], v[32:33]
	v_add_co_u32 v5, vcc_lo, v32, v16
	s_delay_alu instid0(VALU_DEP_2) | instskip(NEXT) | instid1(VALU_DEP_4)
	v_add_co_ci_u32_e32 v38, vcc_lo, v33, v17, vcc_lo
	v_add_co_ci_u32_e32 v37, vcc_lo, 0, v37, vcc_lo
	s_delay_alu instid0(VALU_DEP_1) | instskip(NEXT) | instid1(VALU_DEP_1)
	v_add_nc_u64_e32 v[16:17], v[38:39], v[36:37]
	v_mul_u64_e32 v[32:33], s[22:23], v[16:17]
	s_delay_alu instid0(VALU_DEP_1) | instskip(NEXT) | instid1(VALU_DEP_2)
	v_sub_nc_u32_e32 v5, v34, v33
	v_sub_co_u32 v19, vcc_lo, v30, v32
	s_delay_alu instid0(VALU_DEP_1) | instskip(NEXT) | instid1(VALU_DEP_3)
	v_sub_co_ci_u32_e64 v34, null, v34, v33, vcc_lo
	v_subrev_co_ci_u32_e64 v5, null, s23, v5, vcc_lo
	s_delay_alu instid0(VALU_DEP_3) | instskip(SKIP_1) | instid1(VALU_DEP_3)
	v_sub_co_u32 v30, s3, v19, s22
	v_add_nc_u64_e32 v[32:33], 1, v[16:17]
	v_subrev_co_ci_u32_e64 v5, null, 0, v5, s3
	s_delay_alu instid0(VALU_DEP_3) | instskip(SKIP_1) | instid1(VALU_DEP_3)
	v_cmp_le_u32_e32 vcc_lo, s22, v30
	v_cndmask_b32_e64 v30, 0, -1, vcc_lo
	v_cmp_le_u32_e32 vcc_lo, s23, v5
	v_cndmask_b32_e64 v31, 0, -1, vcc_lo
	;; [unrolled: 2-line block ×4, first 2 shown]
	v_cmp_eq_u32_e32 vcc_lo, s23, v5
	v_cndmask_b32_e32 v5, v31, v30, vcc_lo
	v_cmp_eq_u32_e32 vcc_lo, s23, v34
	v_add_nc_u64_e32 v[30:31], 2, v[16:17]
	v_cndmask_b32_e32 v19, v35, v19, vcc_lo
	s_delay_alu instid0(VALU_DEP_4) | instskip(NEXT) | instid1(VALU_DEP_2)
	v_cmp_ne_u32_e32 vcc_lo, 0, v5
	v_cmp_ne_u32_e64 s3, 0, v19
	s_delay_alu instid0(VALU_DEP_4) | instskip(NEXT) | instid1(VALU_DEP_1)
	v_dual_cndmask_b32 v5, v33, v31, vcc_lo :: v_dual_cndmask_b32 v19, v32, v30, vcc_lo
	v_dual_cndmask_b32 v16, v16, v19, s3 :: v_dual_mov_b32 v19, v18
	s_delay_alu instid0(VALU_DEP_1) | instskip(NEXT) | instid1(VALU_DEP_1)
	v_dual_cndmask_b32 v5, v17, v5, s3 :: v_dual_bitop2_b32 v16, v16, v18 bitop3:0x14
	v_xor_b32_e32 v17, v5, v18
	s_delay_alu instid0(VALU_DEP_1)
	v_sub_nc_u64_e32 v[18:19], v[16:17], v[18:19]
                                        ; implicit-def: $vgpr16_vgpr17
.LBB35_12:                              ;   in Loop: Header=BB35_10 Depth=2
	s_and_not1_saveexec_b32 s3, s27
	s_cbranch_execz .LBB35_14
; %bb.13:                               ;   in Loop: Header=BB35_10 Depth=2
	v_cvt_f32_u32_e32 v5, s8
	v_mov_b32_e32 v19, v4
	s_delay_alu instid0(VALU_DEP_2) | instskip(SKIP_1) | instid1(TRANS32_DEP_1)
	v_rcp_iflag_f32_e32 v5, v5
	v_nop
	v_mul_f32_e32 v5, 0x4f7ffffe, v5
	s_delay_alu instid0(VALU_DEP_1) | instskip(NEXT) | instid1(VALU_DEP_1)
	v_cvt_u32_f32_e32 v5, v5
	v_mul_lo_u32 v17, s24, v5
	s_delay_alu instid0(VALU_DEP_1) | instskip(NEXT) | instid1(VALU_DEP_1)
	v_mul_hi_u32 v17, v5, v17
	v_add_nc_u32_e32 v5, v5, v17
	s_delay_alu instid0(VALU_DEP_1) | instskip(NEXT) | instid1(VALU_DEP_1)
	v_mul_hi_u32 v5, v16, v5
	v_mul_lo_u32 v17, v5, s8
	s_delay_alu instid0(VALU_DEP_1) | instskip(SKIP_1) | instid1(VALU_DEP_2)
	v_sub_nc_u32_e32 v16, v16, v17
	v_add_nc_u32_e32 v17, 1, v5
	v_subrev_nc_u32_e32 v18, s8, v16
	v_cmp_le_u32_e32 vcc_lo, s8, v16
	s_delay_alu instid0(VALU_DEP_2) | instskip(NEXT) | instid1(VALU_DEP_1)
	v_dual_cndmask_b32 v16, v16, v18 :: v_dual_cndmask_b32 v5, v5, v17
	v_cmp_le_u32_e32 vcc_lo, s8, v16
	s_delay_alu instid0(VALU_DEP_2) | instskip(NEXT) | instid1(VALU_DEP_1)
	v_add_nc_u32_e32 v17, 1, v5
	v_cndmask_b32_e32 v18, v5, v17, vcc_lo
.LBB35_14:                              ;   in Loop: Header=BB35_10 Depth=2
	s_or_b32 exec_lo, exec_lo, s3
	s_delay_alu instid0(VALU_DEP_1) | instskip(SKIP_2) | instid1(SALU_CYCLE_1)
	v_cmp_ne_u64_e64 s3, v[18:19], v[8:9]
	v_cmp_eq_u64_e32 vcc_lo, v[18:19], v[8:9]
	s_and_saveexec_b32 s16, s3
	s_xor_b32 s3, exec_lo, s16
; %bb.15:                               ;   in Loop: Header=BB35_10 Depth=2
	v_min_i64 v[6:7], v[18:19], v[6:7]
                                        ; implicit-def: $vgpr14_vgpr15
; %bb.16:                               ;   in Loop: Header=BB35_10 Depth=2
	s_or_saveexec_b32 s3, s3
	v_mov_b64_e32 v[16:17], v[10:11]
	s_xor_b32 exec_lo, exec_lo, s3
	s_cbranch_execz .LBB35_9
; %bb.17:                               ;   in Loop: Header=BB35_10 Depth=2
	v_mov_b64_e32 v[16:17], v[14:15]
	ds_store_b8 v20, v29 offset:128
	s_branch .LBB35_9
.LBB35_18:                              ;   in Loop: Header=BB35_7 Depth=1
	s_or_b32 exec_lo, exec_lo, s26
.LBB35_19:                              ;   in Loop: Header=BB35_7 Depth=1
	s_delay_alu instid0(SALU_CYCLE_1)
	s_or_b32 exec_lo, exec_lo, s25
	ds_bpermute_b32 v8, v23, v16
	ds_bpermute_b32 v9, v23, v17
	s_wait_dscnt 0x0
	ds_load_u8 v5, v20 offset:128
	v_min_i64 v[8:9], v[8:9], v[16:17]
	s_wait_dscnt 0x0
	v_and_b32_e32 v5, 1, v5
	s_delay_alu instid0(VALU_DEP_1)
	v_cmp_eq_u32_e32 vcc_lo, 1, v5
	s_and_b32 s16, s2, vcc_lo
	ds_bpermute_b32 v10, v24, v8
	ds_bpermute_b32 v11, v24, v9
	s_wait_dscnt 0x0
	v_min_i64 v[8:9], v[10:11], v[8:9]
	ds_bpermute_b32 v10, v25, v8
	ds_bpermute_b32 v11, v25, v9
	s_and_saveexec_b32 s3, s16
	s_cbranch_execz .LBB35_6
; %bb.20:                               ;   in Loop: Header=BB35_7 Depth=1
	ds_load_b64 v[8:9], v21
	s_wait_dscnt 0x0
	v_add_nc_u64_e32 v[8:9], 1, v[8:9]
	ds_store_b64 v21, v[8:9]
	s_branch .LBB35_6
.LBB35_21:
	s_or_b32 exec_lo, exec_lo, s13
.LBB35_22:
	s_delay_alu instid0(SALU_CYCLE_1)
	s_mov_b32 s2, exec_lo
	v_cmpx_eq_u32_e32 0, v22
	s_cbranch_execz .LBB35_25
; %bb.23:
	s_clause 0x1
	s_load_b32 s6, s[0:1], 0x40
	s_load_b64 s[2:3], s[0:1], 0x48
	s_wait_kmcnt 0x0
	v_dual_mov_b32 v1, 0 :: v_dual_mov_b32 v0, s6
	global_store_b64 v1, v[0:1], s[2:3]
	s_wait_xcnt 0x0
	v_lshl_or_b32 v0, s12, 4, v20
	s_delay_alu instid0(VALU_DEP_1)
	v_cmp_gt_i64_e32 vcc_lo, s[4:5], v[0:1]
	s_and_b32 exec_lo, exec_lo, vcc_lo
	s_cbranch_execz .LBB35_25
; %bb.24:
	ds_load_b64 v[2:3], v21
	v_add_nc_u32_e32 v0, 1, v0
	s_wait_dscnt 0x0
	global_store_b64 v0, v[2:3], s[2:3] scale_offset
.LBB35_25:
	s_endpgm
	.section	.rodata,"a",@progbits
	.p2align	6, 0x0
	.amdhsa_kernel _ZN9rocsparseL46csr2bsr_nnz_wavefront_per_row_multipass_kernelILj256ELj16ELj4EllEEvT3_S1_S1_S1_S1_21rocsparse_index_base_PKT2_PKS1_S2_PS3_
		.amdhsa_group_segment_fixed_size 144
		.amdhsa_private_segment_fixed_size 0
		.amdhsa_kernarg_size 80
		.amdhsa_user_sgpr_count 2
		.amdhsa_user_sgpr_dispatch_ptr 0
		.amdhsa_user_sgpr_queue_ptr 0
		.amdhsa_user_sgpr_kernarg_segment_ptr 1
		.amdhsa_user_sgpr_dispatch_id 0
		.amdhsa_user_sgpr_kernarg_preload_length 0
		.amdhsa_user_sgpr_kernarg_preload_offset 0
		.amdhsa_user_sgpr_private_segment_size 0
		.amdhsa_wavefront_size32 1
		.amdhsa_uses_dynamic_stack 0
		.amdhsa_enable_private_segment 0
		.amdhsa_system_sgpr_workgroup_id_x 1
		.amdhsa_system_sgpr_workgroup_id_y 0
		.amdhsa_system_sgpr_workgroup_id_z 0
		.amdhsa_system_sgpr_workgroup_info 0
		.amdhsa_system_vgpr_workitem_id 0
		.amdhsa_next_free_vgpr 40
		.amdhsa_next_free_sgpr 38
		.amdhsa_named_barrier_count 0
		.amdhsa_reserve_vcc 1
		.amdhsa_float_round_mode_32 0
		.amdhsa_float_round_mode_16_64 0
		.amdhsa_float_denorm_mode_32 3
		.amdhsa_float_denorm_mode_16_64 3
		.amdhsa_fp16_overflow 0
		.amdhsa_memory_ordered 1
		.amdhsa_forward_progress 1
		.amdhsa_inst_pref_size 15
		.amdhsa_round_robin_scheduling 0
		.amdhsa_exception_fp_ieee_invalid_op 0
		.amdhsa_exception_fp_denorm_src 0
		.amdhsa_exception_fp_ieee_div_zero 0
		.amdhsa_exception_fp_ieee_overflow 0
		.amdhsa_exception_fp_ieee_underflow 0
		.amdhsa_exception_fp_ieee_inexact 0
		.amdhsa_exception_int_div_zero 0
	.end_amdhsa_kernel
	.section	.text._ZN9rocsparseL46csr2bsr_nnz_wavefront_per_row_multipass_kernelILj256ELj16ELj4EllEEvT3_S1_S1_S1_S1_21rocsparse_index_base_PKT2_PKS1_S2_PS3_,"axG",@progbits,_ZN9rocsparseL46csr2bsr_nnz_wavefront_per_row_multipass_kernelILj256ELj16ELj4EllEEvT3_S1_S1_S1_S1_21rocsparse_index_base_PKT2_PKS1_S2_PS3_,comdat
.Lfunc_end35:
	.size	_ZN9rocsparseL46csr2bsr_nnz_wavefront_per_row_multipass_kernelILj256ELj16ELj4EllEEvT3_S1_S1_S1_S1_21rocsparse_index_base_PKT2_PKS1_S2_PS3_, .Lfunc_end35-_ZN9rocsparseL46csr2bsr_nnz_wavefront_per_row_multipass_kernelILj256ELj16ELj4EllEEvT3_S1_S1_S1_S1_21rocsparse_index_base_PKT2_PKS1_S2_PS3_
                                        ; -- End function
	.set _ZN9rocsparseL46csr2bsr_nnz_wavefront_per_row_multipass_kernelILj256ELj16ELj4EllEEvT3_S1_S1_S1_S1_21rocsparse_index_base_PKT2_PKS1_S2_PS3_.num_vgpr, 40
	.set _ZN9rocsparseL46csr2bsr_nnz_wavefront_per_row_multipass_kernelILj256ELj16ELj4EllEEvT3_S1_S1_S1_S1_21rocsparse_index_base_PKT2_PKS1_S2_PS3_.num_agpr, 0
	.set _ZN9rocsparseL46csr2bsr_nnz_wavefront_per_row_multipass_kernelILj256ELj16ELj4EllEEvT3_S1_S1_S1_S1_21rocsparse_index_base_PKT2_PKS1_S2_PS3_.numbered_sgpr, 38
	.set _ZN9rocsparseL46csr2bsr_nnz_wavefront_per_row_multipass_kernelILj256ELj16ELj4EllEEvT3_S1_S1_S1_S1_21rocsparse_index_base_PKT2_PKS1_S2_PS3_.num_named_barrier, 0
	.set _ZN9rocsparseL46csr2bsr_nnz_wavefront_per_row_multipass_kernelILj256ELj16ELj4EllEEvT3_S1_S1_S1_S1_21rocsparse_index_base_PKT2_PKS1_S2_PS3_.private_seg_size, 0
	.set _ZN9rocsparseL46csr2bsr_nnz_wavefront_per_row_multipass_kernelILj256ELj16ELj4EllEEvT3_S1_S1_S1_S1_21rocsparse_index_base_PKT2_PKS1_S2_PS3_.uses_vcc, 1
	.set _ZN9rocsparseL46csr2bsr_nnz_wavefront_per_row_multipass_kernelILj256ELj16ELj4EllEEvT3_S1_S1_S1_S1_21rocsparse_index_base_PKT2_PKS1_S2_PS3_.uses_flat_scratch, 0
	.set _ZN9rocsparseL46csr2bsr_nnz_wavefront_per_row_multipass_kernelILj256ELj16ELj4EllEEvT3_S1_S1_S1_S1_21rocsparse_index_base_PKT2_PKS1_S2_PS3_.has_dyn_sized_stack, 0
	.set _ZN9rocsparseL46csr2bsr_nnz_wavefront_per_row_multipass_kernelILj256ELj16ELj4EllEEvT3_S1_S1_S1_S1_21rocsparse_index_base_PKT2_PKS1_S2_PS3_.has_recursion, 0
	.set _ZN9rocsparseL46csr2bsr_nnz_wavefront_per_row_multipass_kernelILj256ELj16ELj4EllEEvT3_S1_S1_S1_S1_21rocsparse_index_base_PKT2_PKS1_S2_PS3_.has_indirect_call, 0
	.section	.AMDGPU.csdata,"",@progbits
; Kernel info:
; codeLenInByte = 1868
; TotalNumSgprs: 40
; NumVgprs: 40
; ScratchSize: 0
; MemoryBound: 0
; FloatMode: 240
; IeeeMode: 1
; LDSByteSize: 144 bytes/workgroup (compile time only)
; SGPRBlocks: 0
; VGPRBlocks: 2
; NumSGPRsForWavesPerEU: 40
; NumVGPRsForWavesPerEU: 40
; NamedBarCnt: 0
; Occupancy: 16
; WaveLimiterHint : 0
; COMPUTE_PGM_RSRC2:SCRATCH_EN: 0
; COMPUTE_PGM_RSRC2:USER_SGPR: 2
; COMPUTE_PGM_RSRC2:TRAP_HANDLER: 0
; COMPUTE_PGM_RSRC2:TGID_X_EN: 1
; COMPUTE_PGM_RSRC2:TGID_Y_EN: 0
; COMPUTE_PGM_RSRC2:TGID_Z_EN: 0
; COMPUTE_PGM_RSRC2:TIDIG_COMP_CNT: 0
	.section	.text._ZN9rocsparseL46csr2bsr_nnz_wavefront_per_row_multipass_kernelILj256ELj64ELj8EllEEvT3_S1_S1_S1_S1_21rocsparse_index_base_PKT2_PKS1_S2_PS3_,"axG",@progbits,_ZN9rocsparseL46csr2bsr_nnz_wavefront_per_row_multipass_kernelILj256ELj64ELj8EllEEvT3_S1_S1_S1_S1_21rocsparse_index_base_PKT2_PKS1_S2_PS3_,comdat
	.globl	_ZN9rocsparseL46csr2bsr_nnz_wavefront_per_row_multipass_kernelILj256ELj64ELj8EllEEvT3_S1_S1_S1_S1_21rocsparse_index_base_PKT2_PKS1_S2_PS3_ ; -- Begin function _ZN9rocsparseL46csr2bsr_nnz_wavefront_per_row_multipass_kernelILj256ELj64ELj8EllEEvT3_S1_S1_S1_S1_21rocsparse_index_base_PKT2_PKS1_S2_PS3_
	.p2align	8
	.type	_ZN9rocsparseL46csr2bsr_nnz_wavefront_per_row_multipass_kernelILj256ELj64ELj8EllEEvT3_S1_S1_S1_S1_21rocsparse_index_base_PKT2_PKS1_S2_PS3_,@function
_ZN9rocsparseL46csr2bsr_nnz_wavefront_per_row_multipass_kernelILj256ELj64ELj8EllEEvT3_S1_S1_S1_S1_21rocsparse_index_base_PKT2_PKS1_S2_PS3_: ; @_ZN9rocsparseL46csr2bsr_nnz_wavefront_per_row_multipass_kernelILj256ELj64ELj8EllEEvT3_S1_S1_S1_S1_21rocsparse_index_base_PKT2_PKS1_S2_PS3_
; %bb.0:
	s_bfe_u32 s2, ttmp6, 0x4000c
	s_clause 0x1
	s_load_b96 s[8:10], s[0:1], 0x20
	s_load_b64 s[14:15], s[0:1], 0x30
	s_add_co_i32 s2, s2, 1
	s_and_b32 s3, ttmp6, 15
	s_mul_i32 s2, ttmp9, s2
	s_getreg_b32 s4, hwreg(HW_REG_IB_STS2, 6, 4)
	s_add_co_i32 s3, s3, s2
	s_cmp_eq_u32 s4, 0
	v_dual_mov_b32 v7, 0 :: v_dual_lshrrev_b32 v20, 6, v0
	s_cselect_b32 s12, ttmp9, s3
	v_bfe_u32 v6, v0, 3, 3
	s_ashr_i32 s13, s12, 31
	v_mov_b64_e32 v[10:11], 0
	s_lshl_b64 s[2:3], s[12:13], 2
	s_delay_alu instid0(SALU_CYCLE_1) | instskip(SKIP_3) | instid1(VALU_DEP_1)
	v_dual_lshlrev_b32 v21, 3, v20 :: v_dual_bitop2_b32 v1, s2, v20 bitop3:0x54
	s_mov_b32 s11, 0
	s_load_b128 s[4:7], s[0:1], 0x10
	s_wait_kmcnt 0x0
	v_mad_nc_u64_u32 v[4:5], v1, s8, v[6:7]
	s_delay_alu instid0(VALU_DEP_1) | instskip(SKIP_1) | instid1(VALU_DEP_1)
	v_mad_u32 v2, s3, s8, v5
	s_load_b64 s[2:3], s[0:1], 0x0
	v_mad_u32 v5, v1, s9, v2
	v_mov_b64_e32 v[2:3], 0
	ds_store_b64 v21, v[2:3]
	s_wait_dscnt 0x0
	s_barrier_signal -1
	s_wait_kmcnt 0x0
	v_cmp_gt_i64_e32 vcc_lo, s[2:3], v[4:5]
	v_cmp_gt_i64_e64 s2, s[8:9], v[6:7]
	s_barrier_wait -1
	s_and_b32 s2, s2, vcc_lo
	s_delay_alu instid0(SALU_CYCLE_1)
	s_and_saveexec_b32 s3, s2
	s_cbranch_execz .LBB36_2
; %bb.1:
	v_lshl_add_u64 v[6:7], v[4:5], 3, s[14:15]
	global_load_b64 v[6:7], v[6:7], off
	s_wait_loadcnt 0x0
	v_sub_nc_u64_e64 v[10:11], v[6:7], s[10:11]
.LBB36_2:
	s_or_b32 exec_lo, exec_lo, s3
	s_and_saveexec_b32 s3, s2
	s_cbranch_execz .LBB36_4
; %bb.3:
	v_lshl_add_u64 v[2:3], v[4:5], 3, s[14:15]
	global_load_b64 v[2:3], v[2:3], off offset:8
	s_wait_loadcnt 0x0
	v_sub_nc_u64_e64 v[2:3], v[2:3], s[10:11]
.LBB36_4:
	s_or_b32 exec_lo, exec_lo, s3
	v_cmp_lt_i64_e64 s2, s[6:7], 1
	v_and_b32_e32 v22, 63, v0
	s_and_b32 vcc_lo, exec_lo, s2
	s_delay_alu instid0(VALU_DEP_1)
	v_cmp_eq_u32_e64 s2, 0, v22
	s_cbranch_vccnz .LBB36_22
; %bb.5:
	v_mbcnt_lo_u32_b32 v5, -1, 0
	s_load_b64 s[14:15], s[0:1], 0x38
	v_bfrev_b32_e32 v30, 0.5
	s_mov_b32 s17, 0
	s_mov_b64 s[18:19], 0xffffffff
	v_dual_mov_b32 v4, 0 :: v_dual_bitop2_b32 v1, 4, v5 bitop3:0x14
	v_xor_b32_e32 v6, 2, v5
	v_lshl_or_b32 v26, v5, 2, 28
	s_mov_b32 s11, s17
	s_delay_alu instid0(VALU_DEP_3)
	v_cmp_gt_i32_e32 vcc_lo, 32, v1
	v_and_b32_e32 v0, 7, v0
	s_ashr_i32 s20, s9, 31
	s_sub_co_i32 s24, 0, s8
	s_mov_b32 s13, 0
	v_dual_cndmask_b32 v7, v5, v1, vcc_lo :: v_dual_mov_b32 v1, v4
	v_cmp_gt_i32_e32 vcc_lo, 32, v6
	v_dual_mov_b32 v31, 1 :: v_dual_bitop2_b32 v8, 1, v5 bitop3:0x14
	s_delay_alu instid0(VALU_DEP_3) | instskip(NEXT) | instid1(VALU_DEP_2)
	v_dual_cndmask_b32 v6, v5, v6 :: v_dual_lshlrev_b32 v23, 2, v7
	v_cmp_gt_i32_e32 vcc_lo, 32, v8
	s_delay_alu instid0(VALU_DEP_2) | instskip(SKIP_1) | instid1(VALU_DEP_2)
	v_dual_lshlrev_b32 v24, 2, v6 :: v_dual_bitop2_b32 v6, 32, v5 bitop3:0x54
	v_cndmask_b32_e32 v8, v5, v8, vcc_lo
	v_cmp_gt_i32_e32 vcc_lo, 32, v6
	s_delay_alu instid0(VALU_DEP_2) | instskip(SKIP_1) | instid1(VALU_DEP_2)
	v_dual_lshlrev_b32 v25, 2, v8 :: v_dual_bitop2_b32 v7, 16, v5 bitop3:0x14
	v_cndmask_b32_e32 v6, v5, v6, vcc_lo
	v_cmp_gt_i32_e32 vcc_lo, 32, v7
	v_dual_cndmask_b32 v7, v5, v7, vcc_lo :: v_dual_bitop2_b32 v9, 8, v5 bitop3:0x14
	s_delay_alu instid0(VALU_DEP_1) | instskip(NEXT) | instid1(VALU_DEP_2)
	v_cmp_gt_i32_e32 vcc_lo, 32, v9
	v_dual_lshlrev_b32 v27, 2, v6 :: v_dual_lshlrev_b32 v28, 2, v7
	v_cndmask_b32_e32 v9, v5, v9, vcc_lo
	s_delay_alu instid0(VALU_DEP_1)
	v_lshlrev_b32_e32 v29, 2, v9
	v_mov_b64_e32 v[8:9], 0
	s_branch .LBB36_7
.LBB36_6:                               ;   in Loop: Header=BB36_7 Depth=1
	s_or_b32 exec_lo, exec_lo, s3
	ds_bpermute_b32 v8, v27, v6
	ds_bpermute_b32 v9, v27, v7
	s_wait_dscnt 0x0
	v_min_i64 v[6:7], v[8:9], v[6:7]
	ds_bpermute_b32 v8, v28, v6
	ds_bpermute_b32 v9, v28, v7
	s_wait_dscnt 0x0
	v_min_i64 v[6:7], v[8:9], v[6:7]
	;; [unrolled: 4-line block ×6, first 2 shown]
	ds_bpermute_b32 v8, v30, v6
	ds_bpermute_b32 v9, v30, v7
	s_wait_dscnt 0x0
	v_cmp_le_i64_e32 vcc_lo, s[6:7], v[8:9]
	s_or_b32 s13, vcc_lo, s13
	s_delay_alu instid0(SALU_CYCLE_1)
	s_and_not1_b32 exec_lo, exec_lo, s13
	s_cbranch_execz .LBB36_21
.LBB36_7:                               ; =>This Loop Header: Depth=1
                                        ;     Child Loop BB36_10 Depth 2
	v_add_nc_u64_e32 v[10:11], v[10:11], v[0:1]
	v_mov_b64_e32 v[6:7], s[6:7]
	v_mov_b64_e32 v[16:17], v[2:3]
	s_mov_b32 s25, exec_lo
	ds_store_b8 v20, v4 offset:32
	s_wait_dscnt 0x0
	v_cmpx_lt_i64_e64 v[10:11], v[2:3]
	s_cbranch_execz .LBB36_19
; %bb.8:                                ;   in Loop: Header=BB36_7 Depth=1
	v_mov_b64_e32 v[6:7], s[6:7]
	v_mov_b64_e32 v[14:15], v[2:3]
	s_wait_kmcnt 0x0
	v_lshl_add_u64 v[12:13], v[10:11], 3, s[14:15]
	s_mov_b32 s26, 0
	s_branch .LBB36_10
.LBB36_9:                               ;   in Loop: Header=BB36_10 Depth=2
	s_or_b32 exec_lo, exec_lo, s3
	v_add_nc_u64_e32 v[10:11], 8, v[10:11]
	s_xor_b32 s16, vcc_lo, -1
	v_add_nc_u64_e32 v[12:13], 64, v[12:13]
	v_mov_b64_e32 v[14:15], v[16:17]
	s_delay_alu instid0(VALU_DEP_3) | instskip(SKIP_1) | instid1(SALU_CYCLE_1)
	v_cmp_ge_i64_e64 s3, v[10:11], v[2:3]
	s_or_b32 s3, s16, s3
	s_and_b32 s3, exec_lo, s3
	s_delay_alu instid0(SALU_CYCLE_1) | instskip(NEXT) | instid1(SALU_CYCLE_1)
	s_or_b32 s26, s3, s26
	s_and_not1_b32 exec_lo, exec_lo, s26
	s_cbranch_execz .LBB36_18
.LBB36_10:                              ;   Parent Loop BB36_7 Depth=1
                                        ; =>  This Inner Loop Header: Depth=2
	global_load_b64 v[16:17], v[12:13], off
                                        ; implicit-def: $vgpr18_vgpr19
	s_mov_b32 s3, exec_lo
	s_wait_loadcnt 0x0
	v_sub_nc_u64_e64 v[16:17], v[16:17], s[10:11]
	s_delay_alu instid0(VALU_DEP_1) | instskip(SKIP_1) | instid1(VALU_DEP_1)
	v_or_b32_e32 v5, s9, v17
	s_wait_xcnt 0x0
	v_cmpx_ne_u64_e32 0, v[4:5]
	s_xor_b32 s27, exec_lo, s3
	s_cbranch_execz .LBB36_12
; %bb.11:                               ;   in Loop: Header=BB36_10 Depth=2
	s_mov_b32 s21, s20
	v_dual_mov_b32 v33, v4 :: v_dual_ashrrev_i32 v18, 31, v17
	s_add_nc_u64 s[22:23], s[8:9], s[20:21]
	v_mov_b32_e32 v41, v4
	s_xor_b64 s[22:23], s[22:23], s[20:21]
	s_delay_alu instid0(VALU_DEP_2) | instskip(SKIP_3) | instid1(VALU_DEP_1)
	v_mov_b32_e32 v19, v18
	s_cvt_f32_u32 s3, s22
	s_cvt_f32_u32 s16, s23
	s_sub_nc_u64 s[30:31], 0, s[22:23]
	v_add_nc_u64_e32 v[16:17], v[16:17], v[18:19]
	s_delay_alu instid0(SALU_CYCLE_1) | instskip(SKIP_1) | instid1(SALU_CYCLE_2)
	s_fmamk_f32 s3, s16, 0x4f800000, s3
	v_mov_b32_e32 v37, v4
	v_s_rcp_f32 s3, s3
	s_delay_alu instid0(VALU_DEP_2) | instskip(NEXT) | instid1(VALU_DEP_3)
	v_xor_b32_e32 v32, v16, v18
	v_xor_b32_e32 v36, v17, v18
	s_delay_alu instid0(TRANS32_DEP_1) | instskip(NEXT) | instid1(SALU_CYCLE_3)
	s_mul_f32 s3, s3, 0x5f7ffffc
	s_mul_f32 s16, s3, 0x2f800000
	s_delay_alu instid0(SALU_CYCLE_3) | instskip(NEXT) | instid1(SALU_CYCLE_3)
	s_trunc_f32 s16, s16
	s_fmamk_f32 s3, s16, 0xcf800000, s3
	s_cvt_u32_f32 s29, s16
	s_delay_alu instid0(SALU_CYCLE_2) | instskip(NEXT) | instid1(SALU_CYCLE_3)
	s_cvt_u32_f32 s28, s3
	s_mul_u64 s[34:35], s[30:31], s[28:29]
	s_delay_alu instid0(SALU_CYCLE_1)
	s_mul_hi_u32 s37, s28, s35
	s_mul_i32 s36, s28, s35
	s_mul_hi_u32 s16, s28, s34
	s_mul_i32 s21, s29, s34
	s_add_nc_u64 s[36:37], s[16:17], s[36:37]
	s_mul_hi_u32 s3, s29, s34
	s_mul_hi_u32 s33, s29, s35
	s_add_co_u32 s16, s36, s21
	s_add_co_ci_u32 s16, s37, s3
	s_mul_i32 s34, s29, s35
	s_add_co_ci_u32 s35, s33, 0
	s_delay_alu instid0(SALU_CYCLE_1) | instskip(NEXT) | instid1(SALU_CYCLE_1)
	s_add_nc_u64 s[34:35], s[16:17], s[34:35]
	s_add_co_u32 s28, s28, s34
	s_cselect_b32 s3, -1, 0
	s_delay_alu instid0(SALU_CYCLE_1) | instskip(SKIP_1) | instid1(SALU_CYCLE_1)
	s_cmp_lg_u32 s3, 0
	s_add_co_ci_u32 s29, s29, s35
	s_mul_u64 s[30:31], s[30:31], s[28:29]
	s_delay_alu instid0(SALU_CYCLE_1)
	s_mul_hi_u32 s35, s28, s31
	s_mul_i32 s34, s28, s31
	s_mul_hi_u32 s16, s28, s30
	s_mul_i32 s21, s29, s30
	s_add_nc_u64 s[34:35], s[16:17], s[34:35]
	s_mul_hi_u32 s3, s29, s30
	s_mul_hi_u32 s33, s29, s31
	s_add_co_u32 s16, s34, s21
	s_add_co_ci_u32 s16, s35, s3
	s_mul_i32 s30, s29, s31
	s_add_co_ci_u32 s31, s33, 0
	s_delay_alu instid0(SALU_CYCLE_1) | instskip(NEXT) | instid1(SALU_CYCLE_1)
	s_add_nc_u64 s[30:31], s[16:17], s[30:31]
	s_add_co_u32 s28, s28, s30
	s_cselect_b32 s3, -1, 0
	v_mul_hi_u32 v40, v32, s28
	s_cmp_lg_u32 s3, 0
	s_add_co_ci_u32 s16, s29, s31
	s_and_b64 s[30:31], s[28:29], s[18:19]
	v_mul_u64_e32 v[34:35], s[16:17], v[32:33]
	v_mul_u64_e32 v[16:17], s[30:31], v[36:37]
	;; [unrolled: 1-line block ×3, first 2 shown]
	s_delay_alu instid0(VALU_DEP_3) | instskip(NEXT) | instid1(VALU_DEP_1)
	v_add_nc_u64_e32 v[34:35], v[40:41], v[34:35]
	v_add_co_u32 v5, vcc_lo, v34, v16
	s_delay_alu instid0(VALU_DEP_2) | instskip(NEXT) | instid1(VALU_DEP_4)
	v_add_co_ci_u32_e32 v40, vcc_lo, v35, v17, vcc_lo
	v_add_co_ci_u32_e32 v39, vcc_lo, 0, v39, vcc_lo
	s_delay_alu instid0(VALU_DEP_1) | instskip(NEXT) | instid1(VALU_DEP_1)
	v_add_nc_u64_e32 v[16:17], v[40:41], v[38:39]
	v_mul_u64_e32 v[34:35], s[22:23], v[16:17]
	s_delay_alu instid0(VALU_DEP_1) | instskip(NEXT) | instid1(VALU_DEP_2)
	v_sub_nc_u32_e32 v5, v36, v35
	v_sub_co_u32 v19, vcc_lo, v32, v34
	s_delay_alu instid0(VALU_DEP_1) | instskip(NEXT) | instid1(VALU_DEP_3)
	v_sub_co_ci_u32_e64 v36, null, v36, v35, vcc_lo
	v_subrev_co_ci_u32_e64 v5, null, s23, v5, vcc_lo
	s_delay_alu instid0(VALU_DEP_3) | instskip(SKIP_1) | instid1(VALU_DEP_3)
	v_sub_co_u32 v32, s3, v19, s22
	v_add_nc_u64_e32 v[34:35], 1, v[16:17]
	v_subrev_co_ci_u32_e64 v5, null, 0, v5, s3
	s_delay_alu instid0(VALU_DEP_3) | instskip(SKIP_1) | instid1(VALU_DEP_3)
	v_cmp_le_u32_e32 vcc_lo, s22, v32
	v_cndmask_b32_e64 v32, 0, -1, vcc_lo
	v_cmp_le_u32_e32 vcc_lo, s23, v5
	v_cndmask_b32_e64 v33, 0, -1, vcc_lo
	v_cmp_le_u32_e32 vcc_lo, s22, v19
	v_cndmask_b32_e64 v19, 0, -1, vcc_lo
	v_cmp_le_u32_e32 vcc_lo, s23, v36
	v_cndmask_b32_e64 v37, 0, -1, vcc_lo
	v_cmp_eq_u32_e32 vcc_lo, s23, v5
	v_cndmask_b32_e32 v5, v33, v32, vcc_lo
	v_cmp_eq_u32_e32 vcc_lo, s23, v36
	v_add_nc_u64_e32 v[32:33], 2, v[16:17]
	v_cndmask_b32_e32 v19, v37, v19, vcc_lo
	s_delay_alu instid0(VALU_DEP_4) | instskip(NEXT) | instid1(VALU_DEP_3)
	v_cmp_ne_u32_e32 vcc_lo, 0, v5
	v_cndmask_b32_e32 v5, v35, v33, vcc_lo
	s_delay_alu instid0(VALU_DEP_3) | instskip(SKIP_1) | instid1(VALU_DEP_1)
	v_cmp_ne_u32_e64 s3, 0, v19
	v_dual_cndmask_b32 v19, v34, v32, vcc_lo :: v_dual_bitop2_b32 v18, s20, v18 bitop3:0x14
	v_dual_cndmask_b32 v5, v17, v5, s3 :: v_dual_cndmask_b32 v16, v16, v19, s3
	s_delay_alu instid0(VALU_DEP_1) | instskip(NEXT) | instid1(VALU_DEP_2)
	v_dual_mov_b32 v19, v18 :: v_dual_bitop2_b32 v17, v5, v18 bitop3:0x14
	v_xor_b32_e32 v16, v16, v18
	s_delay_alu instid0(VALU_DEP_1)
	v_sub_nc_u64_e32 v[18:19], v[16:17], v[18:19]
                                        ; implicit-def: $vgpr16_vgpr17
.LBB36_12:                              ;   in Loop: Header=BB36_10 Depth=2
	s_and_not1_saveexec_b32 s3, s27
	s_cbranch_execz .LBB36_14
; %bb.13:                               ;   in Loop: Header=BB36_10 Depth=2
	v_cvt_f32_u32_e32 v5, s8
	v_mov_b32_e32 v19, v4
	s_delay_alu instid0(VALU_DEP_2) | instskip(SKIP_1) | instid1(TRANS32_DEP_1)
	v_rcp_iflag_f32_e32 v5, v5
	v_nop
	v_mul_f32_e32 v5, 0x4f7ffffe, v5
	s_delay_alu instid0(VALU_DEP_1) | instskip(NEXT) | instid1(VALU_DEP_1)
	v_cvt_u32_f32_e32 v5, v5
	v_mul_lo_u32 v17, s24, v5
	s_delay_alu instid0(VALU_DEP_1) | instskip(NEXT) | instid1(VALU_DEP_1)
	v_mul_hi_u32 v17, v5, v17
	v_add_nc_u32_e32 v5, v5, v17
	s_delay_alu instid0(VALU_DEP_1) | instskip(NEXT) | instid1(VALU_DEP_1)
	v_mul_hi_u32 v5, v16, v5
	v_mul_lo_u32 v17, v5, s8
	s_delay_alu instid0(VALU_DEP_1) | instskip(SKIP_1) | instid1(VALU_DEP_2)
	v_sub_nc_u32_e32 v16, v16, v17
	v_add_nc_u32_e32 v17, 1, v5
	v_subrev_nc_u32_e32 v18, s8, v16
	v_cmp_le_u32_e32 vcc_lo, s8, v16
	s_delay_alu instid0(VALU_DEP_2) | instskip(NEXT) | instid1(VALU_DEP_1)
	v_dual_cndmask_b32 v16, v16, v18 :: v_dual_cndmask_b32 v5, v5, v17
	v_cmp_le_u32_e32 vcc_lo, s8, v16
	s_delay_alu instid0(VALU_DEP_2) | instskip(NEXT) | instid1(VALU_DEP_1)
	v_add_nc_u32_e32 v17, 1, v5
	v_cndmask_b32_e32 v18, v5, v17, vcc_lo
.LBB36_14:                              ;   in Loop: Header=BB36_10 Depth=2
	s_or_b32 exec_lo, exec_lo, s3
	s_delay_alu instid0(VALU_DEP_1) | instskip(SKIP_2) | instid1(SALU_CYCLE_1)
	v_cmp_ne_u64_e64 s3, v[18:19], v[8:9]
	v_cmp_eq_u64_e32 vcc_lo, v[18:19], v[8:9]
	s_and_saveexec_b32 s16, s3
	s_xor_b32 s3, exec_lo, s16
; %bb.15:                               ;   in Loop: Header=BB36_10 Depth=2
	v_min_i64 v[6:7], v[18:19], v[6:7]
                                        ; implicit-def: $vgpr14_vgpr15
; %bb.16:                               ;   in Loop: Header=BB36_10 Depth=2
	s_or_saveexec_b32 s3, s3
	v_mov_b64_e32 v[16:17], v[10:11]
	s_xor_b32 exec_lo, exec_lo, s3
	s_cbranch_execz .LBB36_9
; %bb.17:                               ;   in Loop: Header=BB36_10 Depth=2
	v_mov_b64_e32 v[16:17], v[14:15]
	ds_store_b8 v20, v31 offset:32
	s_branch .LBB36_9
.LBB36_18:                              ;   in Loop: Header=BB36_7 Depth=1
	s_or_b32 exec_lo, exec_lo, s26
.LBB36_19:                              ;   in Loop: Header=BB36_7 Depth=1
	s_delay_alu instid0(SALU_CYCLE_1)
	s_or_b32 exec_lo, exec_lo, s25
	ds_bpermute_b32 v8, v23, v16
	ds_bpermute_b32 v9, v23, v17
	s_wait_dscnt 0x0
	ds_load_u8 v5, v20 offset:32
	v_min_i64 v[8:9], v[8:9], v[16:17]
	s_wait_dscnt 0x0
	v_and_b32_e32 v5, 1, v5
	s_delay_alu instid0(VALU_DEP_1)
	v_cmp_eq_u32_e32 vcc_lo, 1, v5
	s_and_b32 s16, s2, vcc_lo
	ds_bpermute_b32 v10, v24, v8
	ds_bpermute_b32 v11, v24, v9
	s_wait_dscnt 0x0
	v_min_i64 v[8:9], v[10:11], v[8:9]
	ds_bpermute_b32 v10, v25, v8
	ds_bpermute_b32 v11, v25, v9
	s_wait_dscnt 0x0
	v_min_i64 v[8:9], v[10:11], v[8:9]
	ds_bpermute_b32 v10, v26, v8
	ds_bpermute_b32 v11, v26, v9
	s_and_saveexec_b32 s3, s16
	s_cbranch_execz .LBB36_6
; %bb.20:                               ;   in Loop: Header=BB36_7 Depth=1
	ds_load_b64 v[8:9], v21
	s_wait_dscnt 0x0
	v_add_nc_u64_e32 v[8:9], 1, v[8:9]
	ds_store_b64 v21, v[8:9]
	s_branch .LBB36_6
.LBB36_21:
	s_or_b32 exec_lo, exec_lo, s13
.LBB36_22:
	s_delay_alu instid0(SALU_CYCLE_1)
	s_mov_b32 s2, exec_lo
	v_cmpx_eq_u32_e32 0, v22
	s_cbranch_execz .LBB36_25
; %bb.23:
	s_clause 0x1
	s_load_b32 s6, s[0:1], 0x40
	s_load_b64 s[2:3], s[0:1], 0x48
	s_wait_kmcnt 0x0
	v_dual_mov_b32 v1, 0 :: v_dual_mov_b32 v0, s6
	global_store_b64 v1, v[0:1], s[2:3]
	s_wait_xcnt 0x0
	v_lshl_or_b32 v0, s12, 2, v20
	s_delay_alu instid0(VALU_DEP_1)
	v_cmp_gt_i64_e32 vcc_lo, s[4:5], v[0:1]
	s_and_b32 exec_lo, exec_lo, vcc_lo
	s_cbranch_execz .LBB36_25
; %bb.24:
	ds_load_b64 v[2:3], v21
	v_add_nc_u32_e32 v0, 1, v0
	s_wait_dscnt 0x0
	global_store_b64 v0, v[2:3], s[2:3] scale_offset
.LBB36_25:
	s_endpgm
	.section	.rodata,"a",@progbits
	.p2align	6, 0x0
	.amdhsa_kernel _ZN9rocsparseL46csr2bsr_nnz_wavefront_per_row_multipass_kernelILj256ELj64ELj8EllEEvT3_S1_S1_S1_S1_21rocsparse_index_base_PKT2_PKS1_S2_PS3_
		.amdhsa_group_segment_fixed_size 40
		.amdhsa_private_segment_fixed_size 0
		.amdhsa_kernarg_size 80
		.amdhsa_user_sgpr_count 2
		.amdhsa_user_sgpr_dispatch_ptr 0
		.amdhsa_user_sgpr_queue_ptr 0
		.amdhsa_user_sgpr_kernarg_segment_ptr 1
		.amdhsa_user_sgpr_dispatch_id 0
		.amdhsa_user_sgpr_kernarg_preload_length 0
		.amdhsa_user_sgpr_kernarg_preload_offset 0
		.amdhsa_user_sgpr_private_segment_size 0
		.amdhsa_wavefront_size32 1
		.amdhsa_uses_dynamic_stack 0
		.amdhsa_enable_private_segment 0
		.amdhsa_system_sgpr_workgroup_id_x 1
		.amdhsa_system_sgpr_workgroup_id_y 0
		.amdhsa_system_sgpr_workgroup_id_z 0
		.amdhsa_system_sgpr_workgroup_info 0
		.amdhsa_system_vgpr_workitem_id 0
		.amdhsa_next_free_vgpr 42
		.amdhsa_next_free_sgpr 38
		.amdhsa_named_barrier_count 0
		.amdhsa_reserve_vcc 1
		.amdhsa_float_round_mode_32 0
		.amdhsa_float_round_mode_16_64 0
		.amdhsa_float_denorm_mode_32 3
		.amdhsa_float_denorm_mode_16_64 3
		.amdhsa_fp16_overflow 0
		.amdhsa_memory_ordered 1
		.amdhsa_forward_progress 1
		.amdhsa_inst_pref_size 16
		.amdhsa_round_robin_scheduling 0
		.amdhsa_exception_fp_ieee_invalid_op 0
		.amdhsa_exception_fp_denorm_src 0
		.amdhsa_exception_fp_ieee_div_zero 0
		.amdhsa_exception_fp_ieee_overflow 0
		.amdhsa_exception_fp_ieee_underflow 0
		.amdhsa_exception_fp_ieee_inexact 0
		.amdhsa_exception_int_div_zero 0
	.end_amdhsa_kernel
	.section	.text._ZN9rocsparseL46csr2bsr_nnz_wavefront_per_row_multipass_kernelILj256ELj64ELj8EllEEvT3_S1_S1_S1_S1_21rocsparse_index_base_PKT2_PKS1_S2_PS3_,"axG",@progbits,_ZN9rocsparseL46csr2bsr_nnz_wavefront_per_row_multipass_kernelILj256ELj64ELj8EllEEvT3_S1_S1_S1_S1_21rocsparse_index_base_PKT2_PKS1_S2_PS3_,comdat
.Lfunc_end36:
	.size	_ZN9rocsparseL46csr2bsr_nnz_wavefront_per_row_multipass_kernelILj256ELj64ELj8EllEEvT3_S1_S1_S1_S1_21rocsparse_index_base_PKT2_PKS1_S2_PS3_, .Lfunc_end36-_ZN9rocsparseL46csr2bsr_nnz_wavefront_per_row_multipass_kernelILj256ELj64ELj8EllEEvT3_S1_S1_S1_S1_21rocsparse_index_base_PKT2_PKS1_S2_PS3_
                                        ; -- End function
	.set _ZN9rocsparseL46csr2bsr_nnz_wavefront_per_row_multipass_kernelILj256ELj64ELj8EllEEvT3_S1_S1_S1_S1_21rocsparse_index_base_PKT2_PKS1_S2_PS3_.num_vgpr, 42
	.set _ZN9rocsparseL46csr2bsr_nnz_wavefront_per_row_multipass_kernelILj256ELj64ELj8EllEEvT3_S1_S1_S1_S1_21rocsparse_index_base_PKT2_PKS1_S2_PS3_.num_agpr, 0
	.set _ZN9rocsparseL46csr2bsr_nnz_wavefront_per_row_multipass_kernelILj256ELj64ELj8EllEEvT3_S1_S1_S1_S1_21rocsparse_index_base_PKT2_PKS1_S2_PS3_.numbered_sgpr, 38
	.set _ZN9rocsparseL46csr2bsr_nnz_wavefront_per_row_multipass_kernelILj256ELj64ELj8EllEEvT3_S1_S1_S1_S1_21rocsparse_index_base_PKT2_PKS1_S2_PS3_.num_named_barrier, 0
	.set _ZN9rocsparseL46csr2bsr_nnz_wavefront_per_row_multipass_kernelILj256ELj64ELj8EllEEvT3_S1_S1_S1_S1_21rocsparse_index_base_PKT2_PKS1_S2_PS3_.private_seg_size, 0
	.set _ZN9rocsparseL46csr2bsr_nnz_wavefront_per_row_multipass_kernelILj256ELj64ELj8EllEEvT3_S1_S1_S1_S1_21rocsparse_index_base_PKT2_PKS1_S2_PS3_.uses_vcc, 1
	.set _ZN9rocsparseL46csr2bsr_nnz_wavefront_per_row_multipass_kernelILj256ELj64ELj8EllEEvT3_S1_S1_S1_S1_21rocsparse_index_base_PKT2_PKS1_S2_PS3_.uses_flat_scratch, 0
	.set _ZN9rocsparseL46csr2bsr_nnz_wavefront_per_row_multipass_kernelILj256ELj64ELj8EllEEvT3_S1_S1_S1_S1_21rocsparse_index_base_PKT2_PKS1_S2_PS3_.has_dyn_sized_stack, 0
	.set _ZN9rocsparseL46csr2bsr_nnz_wavefront_per_row_multipass_kernelILj256ELj64ELj8EllEEvT3_S1_S1_S1_S1_21rocsparse_index_base_PKT2_PKS1_S2_PS3_.has_recursion, 0
	.set _ZN9rocsparseL46csr2bsr_nnz_wavefront_per_row_multipass_kernelILj256ELj64ELj8EllEEvT3_S1_S1_S1_S1_21rocsparse_index_base_PKT2_PKS1_S2_PS3_.has_indirect_call, 0
	.section	.AMDGPU.csdata,"",@progbits
; Kernel info:
; codeLenInByte = 2000
; TotalNumSgprs: 40
; NumVgprs: 42
; ScratchSize: 0
; MemoryBound: 0
; FloatMode: 240
; IeeeMode: 1
; LDSByteSize: 40 bytes/workgroup (compile time only)
; SGPRBlocks: 0
; VGPRBlocks: 2
; NumSGPRsForWavesPerEU: 40
; NumVGPRsForWavesPerEU: 42
; NamedBarCnt: 0
; Occupancy: 16
; WaveLimiterHint : 0
; COMPUTE_PGM_RSRC2:SCRATCH_EN: 0
; COMPUTE_PGM_RSRC2:USER_SGPR: 2
; COMPUTE_PGM_RSRC2:TRAP_HANDLER: 0
; COMPUTE_PGM_RSRC2:TGID_X_EN: 1
; COMPUTE_PGM_RSRC2:TGID_Y_EN: 0
; COMPUTE_PGM_RSRC2:TGID_Z_EN: 0
; COMPUTE_PGM_RSRC2:TIDIG_COMP_CNT: 0
	.section	.text._ZN9rocsparseL46csr2bsr_nnz_wavefront_per_row_multipass_kernelILj256ELj32ELj8EllEEvT3_S1_S1_S1_S1_21rocsparse_index_base_PKT2_PKS1_S2_PS3_,"axG",@progbits,_ZN9rocsparseL46csr2bsr_nnz_wavefront_per_row_multipass_kernelILj256ELj32ELj8EllEEvT3_S1_S1_S1_S1_21rocsparse_index_base_PKT2_PKS1_S2_PS3_,comdat
	.globl	_ZN9rocsparseL46csr2bsr_nnz_wavefront_per_row_multipass_kernelILj256ELj32ELj8EllEEvT3_S1_S1_S1_S1_21rocsparse_index_base_PKT2_PKS1_S2_PS3_ ; -- Begin function _ZN9rocsparseL46csr2bsr_nnz_wavefront_per_row_multipass_kernelILj256ELj32ELj8EllEEvT3_S1_S1_S1_S1_21rocsparse_index_base_PKT2_PKS1_S2_PS3_
	.p2align	8
	.type	_ZN9rocsparseL46csr2bsr_nnz_wavefront_per_row_multipass_kernelILj256ELj32ELj8EllEEvT3_S1_S1_S1_S1_21rocsparse_index_base_PKT2_PKS1_S2_PS3_,@function
_ZN9rocsparseL46csr2bsr_nnz_wavefront_per_row_multipass_kernelILj256ELj32ELj8EllEEvT3_S1_S1_S1_S1_21rocsparse_index_base_PKT2_PKS1_S2_PS3_: ; @_ZN9rocsparseL46csr2bsr_nnz_wavefront_per_row_multipass_kernelILj256ELj32ELj8EllEEvT3_S1_S1_S1_S1_21rocsparse_index_base_PKT2_PKS1_S2_PS3_
; %bb.0:
	s_bfe_u32 s2, ttmp6, 0x4000c
	s_clause 0x1
	s_load_b96 s[8:10], s[0:1], 0x20
	s_load_b64 s[14:15], s[0:1], 0x30
	s_add_co_i32 s2, s2, 1
	s_and_b32 s3, ttmp6, 15
	s_mul_i32 s2, ttmp9, s2
	s_getreg_b32 s4, hwreg(HW_REG_IB_STS2, 6, 4)
	s_add_co_i32 s3, s3, s2
	s_cmp_eq_u32 s4, 0
	v_dual_mov_b32 v7, 0 :: v_dual_lshrrev_b32 v20, 5, v0
	s_cselect_b32 s12, ttmp9, s3
	v_bfe_u32 v6, v0, 2, 3
	s_ashr_i32 s13, s12, 31
	v_mov_b64_e32 v[10:11], 0
	s_lshl_b64 s[2:3], s[12:13], 3
	s_delay_alu instid0(SALU_CYCLE_1) | instskip(SKIP_3) | instid1(VALU_DEP_1)
	v_dual_lshlrev_b32 v21, 3, v20 :: v_dual_bitop2_b32 v1, s2, v20 bitop3:0x54
	s_mov_b32 s11, 0
	s_load_b128 s[4:7], s[0:1], 0x10
	s_wait_kmcnt 0x0
	v_mad_nc_u64_u32 v[4:5], v1, s8, v[6:7]
	s_delay_alu instid0(VALU_DEP_1) | instskip(SKIP_1) | instid1(VALU_DEP_1)
	v_mad_u32 v2, s3, s8, v5
	s_load_b64 s[2:3], s[0:1], 0x0
	v_mad_u32 v5, v1, s9, v2
	v_mov_b64_e32 v[2:3], 0
	ds_store_b64 v21, v[2:3]
	s_wait_dscnt 0x0
	s_barrier_signal -1
	s_wait_kmcnt 0x0
	v_cmp_gt_i64_e32 vcc_lo, s[2:3], v[4:5]
	v_cmp_gt_i64_e64 s2, s[8:9], v[6:7]
	s_barrier_wait -1
	s_and_b32 s2, s2, vcc_lo
	s_delay_alu instid0(SALU_CYCLE_1)
	s_and_saveexec_b32 s3, s2
	s_cbranch_execz .LBB37_2
; %bb.1:
	v_lshl_add_u64 v[6:7], v[4:5], 3, s[14:15]
	global_load_b64 v[6:7], v[6:7], off
	s_wait_loadcnt 0x0
	v_sub_nc_u64_e64 v[10:11], v[6:7], s[10:11]
.LBB37_2:
	s_or_b32 exec_lo, exec_lo, s3
	s_and_saveexec_b32 s3, s2
	s_cbranch_execz .LBB37_4
; %bb.3:
	v_lshl_add_u64 v[2:3], v[4:5], 3, s[14:15]
	global_load_b64 v[2:3], v[2:3], off offset:8
	s_wait_loadcnt 0x0
	v_sub_nc_u64_e64 v[2:3], v[2:3], s[10:11]
.LBB37_4:
	s_or_b32 exec_lo, exec_lo, s3
	v_cmp_lt_i64_e64 s2, s[6:7], 1
	v_and_b32_e32 v22, 31, v0
	s_and_b32 vcc_lo, exec_lo, s2
	s_delay_alu instid0(VALU_DEP_1)
	v_cmp_eq_u32_e64 s2, 0, v22
	s_cbranch_vccnz .LBB37_22
; %bb.5:
	v_mbcnt_lo_u32_b32 v5, -1, 0
	v_mov_b32_e32 v4, 0
	s_load_b64 s[14:15], s[0:1], 0x38
	v_dual_mov_b32 v29, 0x7c :: v_dual_mov_b32 v30, 1
	s_delay_alu instid0(VALU_DEP_3) | instskip(NEXT) | instid1(VALU_DEP_3)
	v_xor_b32_e32 v6, 2, v5
	v_dual_mov_b32 v1, v4 :: v_dual_bitop2_b32 v0, 3, v0 bitop3:0x40
	v_lshl_or_b32 v25, v5, 2, 12
	s_mov_b32 s17, 0
	s_delay_alu instid0(VALU_DEP_3)
	v_cmp_gt_i32_e32 vcc_lo, 32, v6
	v_xor_b32_e32 v7, 1, v5
	s_mov_b32 s11, s17
	s_mov_b64 s[18:19], 0xffffffff
	s_ashr_i32 s20, s9, 31
	v_cndmask_b32_e32 v6, v5, v6, vcc_lo
	v_cmp_gt_i32_e32 vcc_lo, 32, v7
	v_xor_b32_e32 v8, 16, v5
	v_xor_b32_e32 v9, 8, v5
	s_sub_co_i32 s24, 0, s8
	v_dual_lshlrev_b32 v23, 2, v6 :: v_dual_cndmask_b32 v7, v5, v7, vcc_lo
	s_delay_alu instid0(VALU_DEP_3) | instskip(SKIP_4) | instid1(VALU_DEP_2)
	v_cmp_gt_i32_e32 vcc_lo, 32, v8
	v_xor_b32_e32 v6, 4, v5
	s_mov_b32 s13, 0
	v_cndmask_b32_e32 v8, v5, v8, vcc_lo
	v_cmp_gt_i32_e32 vcc_lo, 32, v9
	v_dual_lshlrev_b32 v24, 2, v7 :: v_dual_lshlrev_b32 v26, 2, v8
	v_cndmask_b32_e32 v9, v5, v9, vcc_lo
	v_cmp_gt_i32_e32 vcc_lo, 32, v6
	s_delay_alu instid0(VALU_DEP_2) | instskip(SKIP_1) | instid1(VALU_DEP_2)
	v_dual_cndmask_b32 v6, v5, v6 :: v_dual_lshlrev_b32 v27, 2, v9
	v_mov_b64_e32 v[8:9], 0
	v_lshlrev_b32_e32 v28, 2, v6
	s_branch .LBB37_7
.LBB37_6:                               ;   in Loop: Header=BB37_7 Depth=1
	s_or_b32 exec_lo, exec_lo, s3
	ds_bpermute_b32 v8, v26, v6
	ds_bpermute_b32 v9, v26, v7
	s_wait_dscnt 0x0
	v_min_i64 v[6:7], v[8:9], v[6:7]
	ds_bpermute_b32 v8, v27, v6
	ds_bpermute_b32 v9, v27, v7
	s_wait_dscnt 0x0
	v_min_i64 v[6:7], v[8:9], v[6:7]
	;; [unrolled: 4-line block ×5, first 2 shown]
	ds_bpermute_b32 v8, v29, v6
	ds_bpermute_b32 v9, v29, v7
	s_wait_dscnt 0x0
	v_cmp_le_i64_e32 vcc_lo, s[6:7], v[8:9]
	s_or_b32 s13, vcc_lo, s13
	s_delay_alu instid0(SALU_CYCLE_1)
	s_and_not1_b32 exec_lo, exec_lo, s13
	s_cbranch_execz .LBB37_21
.LBB37_7:                               ; =>This Loop Header: Depth=1
                                        ;     Child Loop BB37_10 Depth 2
	v_add_nc_u64_e32 v[10:11], v[10:11], v[0:1]
	v_mov_b64_e32 v[6:7], s[6:7]
	v_mov_b64_e32 v[16:17], v[2:3]
	s_mov_b32 s25, exec_lo
	ds_store_b8 v20, v4 offset:64
	s_wait_dscnt 0x0
	v_cmpx_lt_i64_e64 v[10:11], v[2:3]
	s_cbranch_execz .LBB37_19
; %bb.8:                                ;   in Loop: Header=BB37_7 Depth=1
	v_mov_b64_e32 v[6:7], s[6:7]
	v_mov_b64_e32 v[14:15], v[2:3]
	s_wait_kmcnt 0x0
	v_lshl_add_u64 v[12:13], v[10:11], 3, s[14:15]
	s_mov_b32 s26, 0
	s_branch .LBB37_10
.LBB37_9:                               ;   in Loop: Header=BB37_10 Depth=2
	s_or_b32 exec_lo, exec_lo, s3
	v_add_nc_u64_e32 v[10:11], 4, v[10:11]
	s_xor_b32 s16, vcc_lo, -1
	v_add_nc_u64_e32 v[12:13], 32, v[12:13]
	v_mov_b64_e32 v[14:15], v[16:17]
	s_delay_alu instid0(VALU_DEP_3) | instskip(SKIP_1) | instid1(SALU_CYCLE_1)
	v_cmp_ge_i64_e64 s3, v[10:11], v[2:3]
	s_or_b32 s3, s16, s3
	s_and_b32 s3, exec_lo, s3
	s_delay_alu instid0(SALU_CYCLE_1) | instskip(NEXT) | instid1(SALU_CYCLE_1)
	s_or_b32 s26, s3, s26
	s_and_not1_b32 exec_lo, exec_lo, s26
	s_cbranch_execz .LBB37_18
.LBB37_10:                              ;   Parent Loop BB37_7 Depth=1
                                        ; =>  This Inner Loop Header: Depth=2
	global_load_b64 v[16:17], v[12:13], off
                                        ; implicit-def: $vgpr18_vgpr19
	s_mov_b32 s3, exec_lo
	s_wait_loadcnt 0x0
	v_sub_nc_u64_e64 v[16:17], v[16:17], s[10:11]
	s_delay_alu instid0(VALU_DEP_1) | instskip(SKIP_1) | instid1(VALU_DEP_1)
	v_or_b32_e32 v5, s9, v17
	s_wait_xcnt 0x0
	v_cmpx_ne_u64_e32 0, v[4:5]
	s_xor_b32 s27, exec_lo, s3
	s_cbranch_execz .LBB37_12
; %bb.11:                               ;   in Loop: Header=BB37_10 Depth=2
	s_mov_b32 s21, s20
	v_dual_mov_b32 v33, v4 :: v_dual_ashrrev_i32 v18, 31, v17
	s_add_nc_u64 s[22:23], s[8:9], s[20:21]
	v_mov_b32_e32 v41, v4
	s_xor_b64 s[22:23], s[22:23], s[20:21]
	s_delay_alu instid0(VALU_DEP_2) | instskip(SKIP_3) | instid1(VALU_DEP_1)
	v_mov_b32_e32 v19, v18
	s_cvt_f32_u32 s3, s22
	s_cvt_f32_u32 s16, s23
	s_sub_nc_u64 s[30:31], 0, s[22:23]
	v_add_nc_u64_e32 v[16:17], v[16:17], v[18:19]
	s_delay_alu instid0(SALU_CYCLE_1) | instskip(SKIP_1) | instid1(SALU_CYCLE_2)
	s_fmamk_f32 s3, s16, 0x4f800000, s3
	v_mov_b32_e32 v37, v4
	v_s_rcp_f32 s3, s3
	s_delay_alu instid0(VALU_DEP_2) | instskip(NEXT) | instid1(VALU_DEP_3)
	v_xor_b32_e32 v32, v16, v18
	v_xor_b32_e32 v36, v17, v18
	;; [unrolled: 1-line block ×3, first 2 shown]
	s_delay_alu instid0(TRANS32_DEP_1) | instskip(NEXT) | instid1(SALU_CYCLE_3)
	s_mul_f32 s3, s3, 0x5f7ffffc
	s_mul_f32 s16, s3, 0x2f800000
	s_delay_alu instid0(SALU_CYCLE_3) | instskip(NEXT) | instid1(SALU_CYCLE_3)
	s_trunc_f32 s16, s16
	s_fmamk_f32 s3, s16, 0xcf800000, s3
	s_cvt_u32_f32 s29, s16
	s_delay_alu instid0(SALU_CYCLE_2) | instskip(NEXT) | instid1(SALU_CYCLE_3)
	s_cvt_u32_f32 s28, s3
	s_mul_u64 s[34:35], s[30:31], s[28:29]
	s_delay_alu instid0(SALU_CYCLE_1)
	s_mul_hi_u32 s37, s28, s35
	s_mul_i32 s36, s28, s35
	s_mul_hi_u32 s16, s28, s34
	s_mul_i32 s21, s29, s34
	s_add_nc_u64 s[36:37], s[16:17], s[36:37]
	s_mul_hi_u32 s3, s29, s34
	s_mul_hi_u32 s33, s29, s35
	s_add_co_u32 s16, s36, s21
	s_add_co_ci_u32 s16, s37, s3
	s_mul_i32 s34, s29, s35
	s_add_co_ci_u32 s35, s33, 0
	s_delay_alu instid0(SALU_CYCLE_1) | instskip(NEXT) | instid1(SALU_CYCLE_1)
	s_add_nc_u64 s[34:35], s[16:17], s[34:35]
	s_add_co_u32 s28, s28, s34
	s_cselect_b32 s3, -1, 0
	s_delay_alu instid0(SALU_CYCLE_1) | instskip(SKIP_1) | instid1(SALU_CYCLE_1)
	s_cmp_lg_u32 s3, 0
	s_add_co_ci_u32 s29, s29, s35
	s_mul_u64 s[30:31], s[30:31], s[28:29]
	s_delay_alu instid0(SALU_CYCLE_1)
	s_mul_hi_u32 s35, s28, s31
	s_mul_i32 s34, s28, s31
	s_mul_hi_u32 s16, s28, s30
	s_mul_i32 s21, s29, s30
	s_add_nc_u64 s[34:35], s[16:17], s[34:35]
	s_mul_hi_u32 s3, s29, s30
	s_mul_hi_u32 s33, s29, s31
	s_add_co_u32 s16, s34, s21
	s_add_co_ci_u32 s16, s35, s3
	s_mul_i32 s30, s29, s31
	s_add_co_ci_u32 s31, s33, 0
	s_delay_alu instid0(SALU_CYCLE_1) | instskip(NEXT) | instid1(SALU_CYCLE_1)
	s_add_nc_u64 s[30:31], s[16:17], s[30:31]
	s_add_co_u32 s28, s28, s30
	s_cselect_b32 s3, -1, 0
	v_mul_hi_u32 v40, v32, s28
	s_cmp_lg_u32 s3, 0
	s_add_co_ci_u32 s16, s29, s31
	s_and_b64 s[30:31], s[28:29], s[18:19]
	v_mul_u64_e32 v[34:35], s[16:17], v[32:33]
	v_mul_u64_e32 v[16:17], s[30:31], v[36:37]
	;; [unrolled: 1-line block ×3, first 2 shown]
	s_delay_alu instid0(VALU_DEP_3) | instskip(NEXT) | instid1(VALU_DEP_1)
	v_add_nc_u64_e32 v[34:35], v[40:41], v[34:35]
	v_add_co_u32 v5, vcc_lo, v34, v16
	s_delay_alu instid0(VALU_DEP_2) | instskip(NEXT) | instid1(VALU_DEP_4)
	v_add_co_ci_u32_e32 v40, vcc_lo, v35, v17, vcc_lo
	v_add_co_ci_u32_e32 v39, vcc_lo, 0, v39, vcc_lo
	s_delay_alu instid0(VALU_DEP_1) | instskip(NEXT) | instid1(VALU_DEP_1)
	v_add_nc_u64_e32 v[16:17], v[40:41], v[38:39]
	v_mul_u64_e32 v[34:35], s[22:23], v[16:17]
	s_delay_alu instid0(VALU_DEP_1) | instskip(NEXT) | instid1(VALU_DEP_2)
	v_sub_nc_u32_e32 v5, v36, v35
	v_sub_co_u32 v19, vcc_lo, v32, v34
	s_delay_alu instid0(VALU_DEP_1) | instskip(NEXT) | instid1(VALU_DEP_3)
	v_sub_co_ci_u32_e64 v36, null, v36, v35, vcc_lo
	v_subrev_co_ci_u32_e64 v5, null, s23, v5, vcc_lo
	s_delay_alu instid0(VALU_DEP_3) | instskip(SKIP_1) | instid1(VALU_DEP_3)
	v_sub_co_u32 v31, s3, v19, s22
	v_add_nc_u64_e32 v[34:35], 1, v[16:17]
	v_subrev_co_ci_u32_e64 v5, null, 0, v5, s3
	s_delay_alu instid0(VALU_DEP_3) | instskip(SKIP_1) | instid1(VALU_DEP_3)
	v_cmp_le_u32_e32 vcc_lo, s22, v31
	v_cndmask_b32_e64 v31, 0, -1, vcc_lo
	v_cmp_le_u32_e32 vcc_lo, s23, v5
	v_cndmask_b32_e64 v32, 0, -1, vcc_lo
	;; [unrolled: 2-line block ×4, first 2 shown]
	v_cmp_eq_u32_e32 vcc_lo, s23, v5
	v_cndmask_b32_e32 v5, v32, v31, vcc_lo
	v_cmp_eq_u32_e32 vcc_lo, s23, v36
	v_add_nc_u64_e32 v[32:33], 2, v[16:17]
	v_cndmask_b32_e32 v19, v37, v19, vcc_lo
	s_delay_alu instid0(VALU_DEP_4) | instskip(NEXT) | instid1(VALU_DEP_2)
	v_cmp_ne_u32_e32 vcc_lo, 0, v5
	v_cmp_ne_u32_e64 s3, 0, v19
	s_delay_alu instid0(VALU_DEP_4) | instskip(NEXT) | instid1(VALU_DEP_1)
	v_dual_cndmask_b32 v19, v34, v32, vcc_lo :: v_dual_cndmask_b32 v5, v35, v33, vcc_lo
	v_dual_cndmask_b32 v16, v16, v19, s3 :: v_dual_cndmask_b32 v5, v17, v5, s3
	s_delay_alu instid0(VALU_DEP_1) | instskip(NEXT) | instid1(VALU_DEP_2)
	v_dual_mov_b32 v19, v18 :: v_dual_bitop2_b32 v16, v16, v18 bitop3:0x14
	v_xor_b32_e32 v17, v5, v18
	s_delay_alu instid0(VALU_DEP_1)
	v_sub_nc_u64_e32 v[18:19], v[16:17], v[18:19]
                                        ; implicit-def: $vgpr16_vgpr17
.LBB37_12:                              ;   in Loop: Header=BB37_10 Depth=2
	s_and_not1_saveexec_b32 s3, s27
	s_cbranch_execz .LBB37_14
; %bb.13:                               ;   in Loop: Header=BB37_10 Depth=2
	v_cvt_f32_u32_e32 v5, s8
	v_mov_b32_e32 v19, v4
	s_delay_alu instid0(VALU_DEP_2) | instskip(SKIP_1) | instid1(TRANS32_DEP_1)
	v_rcp_iflag_f32_e32 v5, v5
	v_nop
	v_mul_f32_e32 v5, 0x4f7ffffe, v5
	s_delay_alu instid0(VALU_DEP_1) | instskip(NEXT) | instid1(VALU_DEP_1)
	v_cvt_u32_f32_e32 v5, v5
	v_mul_lo_u32 v17, s24, v5
	s_delay_alu instid0(VALU_DEP_1) | instskip(NEXT) | instid1(VALU_DEP_1)
	v_mul_hi_u32 v17, v5, v17
	v_add_nc_u32_e32 v5, v5, v17
	s_delay_alu instid0(VALU_DEP_1) | instskip(NEXT) | instid1(VALU_DEP_1)
	v_mul_hi_u32 v5, v16, v5
	v_mul_lo_u32 v17, v5, s8
	s_delay_alu instid0(VALU_DEP_1) | instskip(SKIP_1) | instid1(VALU_DEP_2)
	v_sub_nc_u32_e32 v16, v16, v17
	v_add_nc_u32_e32 v17, 1, v5
	v_subrev_nc_u32_e32 v18, s8, v16
	v_cmp_le_u32_e32 vcc_lo, s8, v16
	s_delay_alu instid0(VALU_DEP_2) | instskip(NEXT) | instid1(VALU_DEP_1)
	v_dual_cndmask_b32 v16, v16, v18 :: v_dual_cndmask_b32 v5, v5, v17
	v_cmp_le_u32_e32 vcc_lo, s8, v16
	s_delay_alu instid0(VALU_DEP_2) | instskip(NEXT) | instid1(VALU_DEP_1)
	v_add_nc_u32_e32 v17, 1, v5
	v_cndmask_b32_e32 v18, v5, v17, vcc_lo
.LBB37_14:                              ;   in Loop: Header=BB37_10 Depth=2
	s_or_b32 exec_lo, exec_lo, s3
	s_delay_alu instid0(VALU_DEP_1) | instskip(SKIP_2) | instid1(SALU_CYCLE_1)
	v_cmp_ne_u64_e64 s3, v[18:19], v[8:9]
	v_cmp_eq_u64_e32 vcc_lo, v[18:19], v[8:9]
	s_and_saveexec_b32 s16, s3
	s_xor_b32 s3, exec_lo, s16
; %bb.15:                               ;   in Loop: Header=BB37_10 Depth=2
	v_min_i64 v[6:7], v[18:19], v[6:7]
                                        ; implicit-def: $vgpr14_vgpr15
; %bb.16:                               ;   in Loop: Header=BB37_10 Depth=2
	s_or_saveexec_b32 s3, s3
	v_mov_b64_e32 v[16:17], v[10:11]
	s_xor_b32 exec_lo, exec_lo, s3
	s_cbranch_execz .LBB37_9
; %bb.17:                               ;   in Loop: Header=BB37_10 Depth=2
	v_mov_b64_e32 v[16:17], v[14:15]
	ds_store_b8 v20, v30 offset:64
	s_branch .LBB37_9
.LBB37_18:                              ;   in Loop: Header=BB37_7 Depth=1
	s_or_b32 exec_lo, exec_lo, s26
.LBB37_19:                              ;   in Loop: Header=BB37_7 Depth=1
	s_delay_alu instid0(SALU_CYCLE_1)
	s_or_b32 exec_lo, exec_lo, s25
	ds_bpermute_b32 v8, v23, v16
	ds_bpermute_b32 v9, v23, v17
	s_wait_dscnt 0x0
	ds_load_u8 v5, v20 offset:64
	v_min_i64 v[8:9], v[8:9], v[16:17]
	s_wait_dscnt 0x0
	v_and_b32_e32 v5, 1, v5
	s_delay_alu instid0(VALU_DEP_1)
	v_cmp_eq_u32_e32 vcc_lo, 1, v5
	s_and_b32 s16, s2, vcc_lo
	ds_bpermute_b32 v10, v24, v8
	ds_bpermute_b32 v11, v24, v9
	s_wait_dscnt 0x0
	v_min_i64 v[8:9], v[10:11], v[8:9]
	ds_bpermute_b32 v10, v25, v8
	ds_bpermute_b32 v11, v25, v9
	s_and_saveexec_b32 s3, s16
	s_cbranch_execz .LBB37_6
; %bb.20:                               ;   in Loop: Header=BB37_7 Depth=1
	ds_load_b64 v[8:9], v21
	s_wait_dscnt 0x0
	v_add_nc_u64_e32 v[8:9], 1, v[8:9]
	ds_store_b64 v21, v[8:9]
	s_branch .LBB37_6
.LBB37_21:
	s_or_b32 exec_lo, exec_lo, s13
.LBB37_22:
	s_delay_alu instid0(SALU_CYCLE_1)
	s_mov_b32 s2, exec_lo
	v_cmpx_eq_u32_e32 0, v22
	s_cbranch_execz .LBB37_25
; %bb.23:
	s_clause 0x1
	s_load_b32 s6, s[0:1], 0x40
	s_load_b64 s[2:3], s[0:1], 0x48
	s_wait_kmcnt 0x0
	v_dual_mov_b32 v1, 0 :: v_dual_mov_b32 v0, s6
	global_store_b64 v1, v[0:1], s[2:3]
	s_wait_xcnt 0x0
	v_lshl_or_b32 v0, s12, 3, v20
	s_delay_alu instid0(VALU_DEP_1)
	v_cmp_gt_i64_e32 vcc_lo, s[4:5], v[0:1]
	s_and_b32 exec_lo, exec_lo, vcc_lo
	s_cbranch_execz .LBB37_25
; %bb.24:
	ds_load_b64 v[2:3], v21
	v_add_nc_u32_e32 v0, 1, v0
	s_wait_dscnt 0x0
	global_store_b64 v0, v[2:3], s[2:3] scale_offset
.LBB37_25:
	s_endpgm
	.section	.rodata,"a",@progbits
	.p2align	6, 0x0
	.amdhsa_kernel _ZN9rocsparseL46csr2bsr_nnz_wavefront_per_row_multipass_kernelILj256ELj32ELj8EllEEvT3_S1_S1_S1_S1_21rocsparse_index_base_PKT2_PKS1_S2_PS3_
		.amdhsa_group_segment_fixed_size 72
		.amdhsa_private_segment_fixed_size 0
		.amdhsa_kernarg_size 80
		.amdhsa_user_sgpr_count 2
		.amdhsa_user_sgpr_dispatch_ptr 0
		.amdhsa_user_sgpr_queue_ptr 0
		.amdhsa_user_sgpr_kernarg_segment_ptr 1
		.amdhsa_user_sgpr_dispatch_id 0
		.amdhsa_user_sgpr_kernarg_preload_length 0
		.amdhsa_user_sgpr_kernarg_preload_offset 0
		.amdhsa_user_sgpr_private_segment_size 0
		.amdhsa_wavefront_size32 1
		.amdhsa_uses_dynamic_stack 0
		.amdhsa_enable_private_segment 0
		.amdhsa_system_sgpr_workgroup_id_x 1
		.amdhsa_system_sgpr_workgroup_id_y 0
		.amdhsa_system_sgpr_workgroup_id_z 0
		.amdhsa_system_sgpr_workgroup_info 0
		.amdhsa_system_vgpr_workitem_id 0
		.amdhsa_next_free_vgpr 42
		.amdhsa_next_free_sgpr 38
		.amdhsa_named_barrier_count 0
		.amdhsa_reserve_vcc 1
		.amdhsa_float_round_mode_32 0
		.amdhsa_float_round_mode_16_64 0
		.amdhsa_float_denorm_mode_32 3
		.amdhsa_float_denorm_mode_16_64 3
		.amdhsa_fp16_overflow 0
		.amdhsa_memory_ordered 1
		.amdhsa_forward_progress 1
		.amdhsa_inst_pref_size 15
		.amdhsa_round_robin_scheduling 0
		.amdhsa_exception_fp_ieee_invalid_op 0
		.amdhsa_exception_fp_denorm_src 0
		.amdhsa_exception_fp_ieee_div_zero 0
		.amdhsa_exception_fp_ieee_overflow 0
		.amdhsa_exception_fp_ieee_underflow 0
		.amdhsa_exception_fp_ieee_inexact 0
		.amdhsa_exception_int_div_zero 0
	.end_amdhsa_kernel
	.section	.text._ZN9rocsparseL46csr2bsr_nnz_wavefront_per_row_multipass_kernelILj256ELj32ELj8EllEEvT3_S1_S1_S1_S1_21rocsparse_index_base_PKT2_PKS1_S2_PS3_,"axG",@progbits,_ZN9rocsparseL46csr2bsr_nnz_wavefront_per_row_multipass_kernelILj256ELj32ELj8EllEEvT3_S1_S1_S1_S1_21rocsparse_index_base_PKT2_PKS1_S2_PS3_,comdat
.Lfunc_end37:
	.size	_ZN9rocsparseL46csr2bsr_nnz_wavefront_per_row_multipass_kernelILj256ELj32ELj8EllEEvT3_S1_S1_S1_S1_21rocsparse_index_base_PKT2_PKS1_S2_PS3_, .Lfunc_end37-_ZN9rocsparseL46csr2bsr_nnz_wavefront_per_row_multipass_kernelILj256ELj32ELj8EllEEvT3_S1_S1_S1_S1_21rocsparse_index_base_PKT2_PKS1_S2_PS3_
                                        ; -- End function
	.set _ZN9rocsparseL46csr2bsr_nnz_wavefront_per_row_multipass_kernelILj256ELj32ELj8EllEEvT3_S1_S1_S1_S1_21rocsparse_index_base_PKT2_PKS1_S2_PS3_.num_vgpr, 42
	.set _ZN9rocsparseL46csr2bsr_nnz_wavefront_per_row_multipass_kernelILj256ELj32ELj8EllEEvT3_S1_S1_S1_S1_21rocsparse_index_base_PKT2_PKS1_S2_PS3_.num_agpr, 0
	.set _ZN9rocsparseL46csr2bsr_nnz_wavefront_per_row_multipass_kernelILj256ELj32ELj8EllEEvT3_S1_S1_S1_S1_21rocsparse_index_base_PKT2_PKS1_S2_PS3_.numbered_sgpr, 38
	.set _ZN9rocsparseL46csr2bsr_nnz_wavefront_per_row_multipass_kernelILj256ELj32ELj8EllEEvT3_S1_S1_S1_S1_21rocsparse_index_base_PKT2_PKS1_S2_PS3_.num_named_barrier, 0
	.set _ZN9rocsparseL46csr2bsr_nnz_wavefront_per_row_multipass_kernelILj256ELj32ELj8EllEEvT3_S1_S1_S1_S1_21rocsparse_index_base_PKT2_PKS1_S2_PS3_.private_seg_size, 0
	.set _ZN9rocsparseL46csr2bsr_nnz_wavefront_per_row_multipass_kernelILj256ELj32ELj8EllEEvT3_S1_S1_S1_S1_21rocsparse_index_base_PKT2_PKS1_S2_PS3_.uses_vcc, 1
	.set _ZN9rocsparseL46csr2bsr_nnz_wavefront_per_row_multipass_kernelILj256ELj32ELj8EllEEvT3_S1_S1_S1_S1_21rocsparse_index_base_PKT2_PKS1_S2_PS3_.uses_flat_scratch, 0
	.set _ZN9rocsparseL46csr2bsr_nnz_wavefront_per_row_multipass_kernelILj256ELj32ELj8EllEEvT3_S1_S1_S1_S1_21rocsparse_index_base_PKT2_PKS1_S2_PS3_.has_dyn_sized_stack, 0
	.set _ZN9rocsparseL46csr2bsr_nnz_wavefront_per_row_multipass_kernelILj256ELj32ELj8EllEEvT3_S1_S1_S1_S1_21rocsparse_index_base_PKT2_PKS1_S2_PS3_.has_recursion, 0
	.set _ZN9rocsparseL46csr2bsr_nnz_wavefront_per_row_multipass_kernelILj256ELj32ELj8EllEEvT3_S1_S1_S1_S1_21rocsparse_index_base_PKT2_PKS1_S2_PS3_.has_indirect_call, 0
	.section	.AMDGPU.csdata,"",@progbits
; Kernel info:
; codeLenInByte = 1908
; TotalNumSgprs: 40
; NumVgprs: 42
; ScratchSize: 0
; MemoryBound: 0
; FloatMode: 240
; IeeeMode: 1
; LDSByteSize: 72 bytes/workgroup (compile time only)
; SGPRBlocks: 0
; VGPRBlocks: 2
; NumSGPRsForWavesPerEU: 40
; NumVGPRsForWavesPerEU: 42
; NamedBarCnt: 0
; Occupancy: 16
; WaveLimiterHint : 0
; COMPUTE_PGM_RSRC2:SCRATCH_EN: 0
; COMPUTE_PGM_RSRC2:USER_SGPR: 2
; COMPUTE_PGM_RSRC2:TRAP_HANDLER: 0
; COMPUTE_PGM_RSRC2:TGID_X_EN: 1
; COMPUTE_PGM_RSRC2:TGID_Y_EN: 0
; COMPUTE_PGM_RSRC2:TGID_Z_EN: 0
; COMPUTE_PGM_RSRC2:TIDIG_COMP_CNT: 0
	.section	.text._ZN9rocsparseL46csr2bsr_nnz_wavefront_per_row_multipass_kernelILj256ELj64ELj16EllEEvT3_S1_S1_S1_S1_21rocsparse_index_base_PKT2_PKS1_S2_PS3_,"axG",@progbits,_ZN9rocsparseL46csr2bsr_nnz_wavefront_per_row_multipass_kernelILj256ELj64ELj16EllEEvT3_S1_S1_S1_S1_21rocsparse_index_base_PKT2_PKS1_S2_PS3_,comdat
	.globl	_ZN9rocsparseL46csr2bsr_nnz_wavefront_per_row_multipass_kernelILj256ELj64ELj16EllEEvT3_S1_S1_S1_S1_21rocsparse_index_base_PKT2_PKS1_S2_PS3_ ; -- Begin function _ZN9rocsparseL46csr2bsr_nnz_wavefront_per_row_multipass_kernelILj256ELj64ELj16EllEEvT3_S1_S1_S1_S1_21rocsparse_index_base_PKT2_PKS1_S2_PS3_
	.p2align	8
	.type	_ZN9rocsparseL46csr2bsr_nnz_wavefront_per_row_multipass_kernelILj256ELj64ELj16EllEEvT3_S1_S1_S1_S1_21rocsparse_index_base_PKT2_PKS1_S2_PS3_,@function
_ZN9rocsparseL46csr2bsr_nnz_wavefront_per_row_multipass_kernelILj256ELj64ELj16EllEEvT3_S1_S1_S1_S1_21rocsparse_index_base_PKT2_PKS1_S2_PS3_: ; @_ZN9rocsparseL46csr2bsr_nnz_wavefront_per_row_multipass_kernelILj256ELj64ELj16EllEEvT3_S1_S1_S1_S1_21rocsparse_index_base_PKT2_PKS1_S2_PS3_
; %bb.0:
	s_bfe_u32 s2, ttmp6, 0x4000c
	s_clause 0x1
	s_load_b96 s[8:10], s[0:1], 0x20
	s_load_b64 s[14:15], s[0:1], 0x30
	s_add_co_i32 s2, s2, 1
	s_and_b32 s3, ttmp6, 15
	s_mul_i32 s2, ttmp9, s2
	s_getreg_b32 s4, hwreg(HW_REG_IB_STS2, 6, 4)
	s_add_co_i32 s3, s3, s2
	s_cmp_eq_u32 s4, 0
	v_dual_mov_b32 v7, 0 :: v_dual_lshrrev_b32 v20, 6, v0
	s_cselect_b32 s12, ttmp9, s3
	v_bfe_u32 v6, v0, 2, 4
	s_ashr_i32 s13, s12, 31
	v_mov_b64_e32 v[10:11], 0
	s_lshl_b64 s[2:3], s[12:13], 2
	s_delay_alu instid0(SALU_CYCLE_1) | instskip(SKIP_3) | instid1(VALU_DEP_1)
	v_dual_lshlrev_b32 v21, 3, v20 :: v_dual_bitop2_b32 v1, s2, v20 bitop3:0x54
	s_mov_b32 s11, 0
	s_load_b128 s[4:7], s[0:1], 0x10
	s_wait_kmcnt 0x0
	v_mad_nc_u64_u32 v[4:5], v1, s8, v[6:7]
	s_delay_alu instid0(VALU_DEP_1) | instskip(SKIP_1) | instid1(VALU_DEP_1)
	v_mad_u32 v2, s3, s8, v5
	s_load_b64 s[2:3], s[0:1], 0x0
	v_mad_u32 v5, v1, s9, v2
	v_mov_b64_e32 v[2:3], 0
	ds_store_b64 v21, v[2:3]
	s_wait_dscnt 0x0
	s_barrier_signal -1
	s_wait_kmcnt 0x0
	v_cmp_gt_i64_e32 vcc_lo, s[2:3], v[4:5]
	v_cmp_gt_i64_e64 s2, s[8:9], v[6:7]
	s_barrier_wait -1
	s_and_b32 s2, s2, vcc_lo
	s_delay_alu instid0(SALU_CYCLE_1)
	s_and_saveexec_b32 s3, s2
	s_cbranch_execz .LBB38_2
; %bb.1:
	v_lshl_add_u64 v[6:7], v[4:5], 3, s[14:15]
	global_load_b64 v[6:7], v[6:7], off
	s_wait_loadcnt 0x0
	v_sub_nc_u64_e64 v[10:11], v[6:7], s[10:11]
.LBB38_2:
	s_or_b32 exec_lo, exec_lo, s3
	s_and_saveexec_b32 s3, s2
	s_cbranch_execz .LBB38_4
; %bb.3:
	v_lshl_add_u64 v[2:3], v[4:5], 3, s[14:15]
	global_load_b64 v[2:3], v[2:3], off offset:8
	s_wait_loadcnt 0x0
	v_sub_nc_u64_e64 v[2:3], v[2:3], s[10:11]
.LBB38_4:
	s_or_b32 exec_lo, exec_lo, s3
	v_cmp_lt_i64_e64 s2, s[6:7], 1
	v_and_b32_e32 v22, 63, v0
	s_and_b32 vcc_lo, exec_lo, s2
	s_delay_alu instid0(VALU_DEP_1)
	v_cmp_eq_u32_e64 s2, 0, v22
	s_cbranch_vccnz .LBB38_22
; %bb.5:
	v_mbcnt_lo_u32_b32 v5, -1, 0
	s_load_b64 s[14:15], s[0:1], 0x38
	v_bfrev_b32_e32 v30, 0.5
	s_mov_b32 s17, 0
	s_mov_b64 s[18:19], 0xffffffff
	v_dual_mov_b32 v4, 0 :: v_dual_bitop2_b32 v1, 2, v5 bitop3:0x14
	v_xor_b32_e32 v6, 1, v5
	v_lshl_or_b32 v25, v5, 2, 12
	s_mov_b32 s11, s17
	s_delay_alu instid0(VALU_DEP_3)
	v_cmp_gt_i32_e32 vcc_lo, 32, v1
	v_and_b32_e32 v0, 3, v0
	s_ashr_i32 s20, s9, 31
	s_sub_co_i32 s24, 0, s8
	s_mov_b32 s13, 0
	v_dual_cndmask_b32 v7, v5, v1, vcc_lo :: v_dual_mov_b32 v1, v4
	v_cmp_gt_i32_e32 vcc_lo, 32, v6
	v_dual_mov_b32 v31, 1 :: v_dual_bitop2_b32 v8, 32, v5 bitop3:0x54
	s_delay_alu instid0(VALU_DEP_3) | instskip(NEXT) | instid1(VALU_DEP_2)
	v_dual_cndmask_b32 v6, v5, v6 :: v_dual_lshlrev_b32 v23, 2, v7
	v_cmp_gt_i32_e32 vcc_lo, 32, v8
	s_delay_alu instid0(VALU_DEP_2) | instskip(SKIP_1) | instid1(VALU_DEP_2)
	v_dual_lshlrev_b32 v24, 2, v6 :: v_dual_bitop2_b32 v6, 16, v5 bitop3:0x14
	v_cndmask_b32_e32 v8, v5, v8, vcc_lo
	v_cmp_gt_i32_e32 vcc_lo, 32, v6
	s_delay_alu instid0(VALU_DEP_2) | instskip(SKIP_1) | instid1(VALU_DEP_2)
	v_dual_lshlrev_b32 v26, 2, v8 :: v_dual_bitop2_b32 v7, 8, v5 bitop3:0x14
	v_cndmask_b32_e32 v6, v5, v6, vcc_lo
	v_cmp_gt_i32_e32 vcc_lo, 32, v7
	v_dual_cndmask_b32 v7, v5, v7, vcc_lo :: v_dual_bitop2_b32 v9, 4, v5 bitop3:0x14
	s_delay_alu instid0(VALU_DEP_1) | instskip(NEXT) | instid1(VALU_DEP_2)
	v_cmp_gt_i32_e32 vcc_lo, 32, v9
	v_dual_lshlrev_b32 v27, 2, v6 :: v_dual_lshlrev_b32 v28, 2, v7
	v_cndmask_b32_e32 v9, v5, v9, vcc_lo
	s_delay_alu instid0(VALU_DEP_1)
	v_lshlrev_b32_e32 v29, 2, v9
	v_mov_b64_e32 v[8:9], 0
	s_branch .LBB38_7
.LBB38_6:                               ;   in Loop: Header=BB38_7 Depth=1
	s_or_b32 exec_lo, exec_lo, s3
	ds_bpermute_b32 v8, v26, v6
	ds_bpermute_b32 v9, v26, v7
	s_wait_dscnt 0x0
	v_min_i64 v[6:7], v[8:9], v[6:7]
	ds_bpermute_b32 v8, v27, v6
	ds_bpermute_b32 v9, v27, v7
	s_wait_dscnt 0x0
	v_min_i64 v[6:7], v[8:9], v[6:7]
	;; [unrolled: 4-line block ×6, first 2 shown]
	ds_bpermute_b32 v8, v30, v6
	ds_bpermute_b32 v9, v30, v7
	s_wait_dscnt 0x0
	v_cmp_le_i64_e32 vcc_lo, s[6:7], v[8:9]
	s_or_b32 s13, vcc_lo, s13
	s_delay_alu instid0(SALU_CYCLE_1)
	s_and_not1_b32 exec_lo, exec_lo, s13
	s_cbranch_execz .LBB38_21
.LBB38_7:                               ; =>This Loop Header: Depth=1
                                        ;     Child Loop BB38_10 Depth 2
	v_add_nc_u64_e32 v[10:11], v[10:11], v[0:1]
	v_mov_b64_e32 v[6:7], s[6:7]
	v_mov_b64_e32 v[16:17], v[2:3]
	s_mov_b32 s25, exec_lo
	ds_store_b8 v20, v4 offset:32
	s_wait_dscnt 0x0
	v_cmpx_lt_i64_e64 v[10:11], v[2:3]
	s_cbranch_execz .LBB38_19
; %bb.8:                                ;   in Loop: Header=BB38_7 Depth=1
	v_mov_b64_e32 v[6:7], s[6:7]
	v_mov_b64_e32 v[14:15], v[2:3]
	s_wait_kmcnt 0x0
	v_lshl_add_u64 v[12:13], v[10:11], 3, s[14:15]
	s_mov_b32 s26, 0
	s_branch .LBB38_10
.LBB38_9:                               ;   in Loop: Header=BB38_10 Depth=2
	s_or_b32 exec_lo, exec_lo, s3
	v_add_nc_u64_e32 v[10:11], 4, v[10:11]
	s_xor_b32 s16, vcc_lo, -1
	v_add_nc_u64_e32 v[12:13], 32, v[12:13]
	v_mov_b64_e32 v[14:15], v[16:17]
	s_delay_alu instid0(VALU_DEP_3) | instskip(SKIP_1) | instid1(SALU_CYCLE_1)
	v_cmp_ge_i64_e64 s3, v[10:11], v[2:3]
	s_or_b32 s3, s16, s3
	s_and_b32 s3, exec_lo, s3
	s_delay_alu instid0(SALU_CYCLE_1) | instskip(NEXT) | instid1(SALU_CYCLE_1)
	s_or_b32 s26, s3, s26
	s_and_not1_b32 exec_lo, exec_lo, s26
	s_cbranch_execz .LBB38_18
.LBB38_10:                              ;   Parent Loop BB38_7 Depth=1
                                        ; =>  This Inner Loop Header: Depth=2
	global_load_b64 v[16:17], v[12:13], off
                                        ; implicit-def: $vgpr18_vgpr19
	s_mov_b32 s3, exec_lo
	s_wait_loadcnt 0x0
	v_sub_nc_u64_e64 v[16:17], v[16:17], s[10:11]
	s_delay_alu instid0(VALU_DEP_1) | instskip(SKIP_1) | instid1(VALU_DEP_1)
	v_or_b32_e32 v5, s9, v17
	s_wait_xcnt 0x0
	v_cmpx_ne_u64_e32 0, v[4:5]
	s_xor_b32 s27, exec_lo, s3
	s_cbranch_execz .LBB38_12
; %bb.11:                               ;   in Loop: Header=BB38_10 Depth=2
	s_mov_b32 s21, s20
	v_dual_mov_b32 v33, v4 :: v_dual_ashrrev_i32 v18, 31, v17
	s_add_nc_u64 s[22:23], s[8:9], s[20:21]
	v_mov_b32_e32 v41, v4
	s_xor_b64 s[22:23], s[22:23], s[20:21]
	s_delay_alu instid0(VALU_DEP_2) | instskip(SKIP_3) | instid1(VALU_DEP_1)
	v_mov_b32_e32 v19, v18
	s_cvt_f32_u32 s3, s22
	s_cvt_f32_u32 s16, s23
	s_sub_nc_u64 s[30:31], 0, s[22:23]
	v_add_nc_u64_e32 v[16:17], v[16:17], v[18:19]
	s_delay_alu instid0(SALU_CYCLE_1) | instskip(SKIP_1) | instid1(SALU_CYCLE_2)
	s_fmamk_f32 s3, s16, 0x4f800000, s3
	v_mov_b32_e32 v37, v4
	v_s_rcp_f32 s3, s3
	s_delay_alu instid0(VALU_DEP_2) | instskip(NEXT) | instid1(VALU_DEP_3)
	v_xor_b32_e32 v32, v16, v18
	v_xor_b32_e32 v36, v17, v18
	s_delay_alu instid0(TRANS32_DEP_1) | instskip(NEXT) | instid1(SALU_CYCLE_3)
	s_mul_f32 s3, s3, 0x5f7ffffc
	s_mul_f32 s16, s3, 0x2f800000
	s_delay_alu instid0(SALU_CYCLE_3) | instskip(NEXT) | instid1(SALU_CYCLE_3)
	s_trunc_f32 s16, s16
	s_fmamk_f32 s3, s16, 0xcf800000, s3
	s_cvt_u32_f32 s29, s16
	s_delay_alu instid0(SALU_CYCLE_2) | instskip(NEXT) | instid1(SALU_CYCLE_3)
	s_cvt_u32_f32 s28, s3
	s_mul_u64 s[34:35], s[30:31], s[28:29]
	s_delay_alu instid0(SALU_CYCLE_1)
	s_mul_hi_u32 s37, s28, s35
	s_mul_i32 s36, s28, s35
	s_mul_hi_u32 s16, s28, s34
	s_mul_i32 s21, s29, s34
	s_add_nc_u64 s[36:37], s[16:17], s[36:37]
	s_mul_hi_u32 s3, s29, s34
	s_mul_hi_u32 s33, s29, s35
	s_add_co_u32 s16, s36, s21
	s_add_co_ci_u32 s16, s37, s3
	s_mul_i32 s34, s29, s35
	s_add_co_ci_u32 s35, s33, 0
	s_delay_alu instid0(SALU_CYCLE_1) | instskip(NEXT) | instid1(SALU_CYCLE_1)
	s_add_nc_u64 s[34:35], s[16:17], s[34:35]
	s_add_co_u32 s28, s28, s34
	s_cselect_b32 s3, -1, 0
	s_delay_alu instid0(SALU_CYCLE_1) | instskip(SKIP_1) | instid1(SALU_CYCLE_1)
	s_cmp_lg_u32 s3, 0
	s_add_co_ci_u32 s29, s29, s35
	s_mul_u64 s[30:31], s[30:31], s[28:29]
	s_delay_alu instid0(SALU_CYCLE_1)
	s_mul_hi_u32 s35, s28, s31
	s_mul_i32 s34, s28, s31
	s_mul_hi_u32 s16, s28, s30
	s_mul_i32 s21, s29, s30
	s_add_nc_u64 s[34:35], s[16:17], s[34:35]
	s_mul_hi_u32 s3, s29, s30
	s_mul_hi_u32 s33, s29, s31
	s_add_co_u32 s16, s34, s21
	s_add_co_ci_u32 s16, s35, s3
	s_mul_i32 s30, s29, s31
	s_add_co_ci_u32 s31, s33, 0
	s_delay_alu instid0(SALU_CYCLE_1) | instskip(NEXT) | instid1(SALU_CYCLE_1)
	s_add_nc_u64 s[30:31], s[16:17], s[30:31]
	s_add_co_u32 s28, s28, s30
	s_cselect_b32 s3, -1, 0
	v_mul_hi_u32 v40, v32, s28
	s_cmp_lg_u32 s3, 0
	s_add_co_ci_u32 s16, s29, s31
	s_and_b64 s[30:31], s[28:29], s[18:19]
	v_mul_u64_e32 v[34:35], s[16:17], v[32:33]
	v_mul_u64_e32 v[16:17], s[30:31], v[36:37]
	;; [unrolled: 1-line block ×3, first 2 shown]
	s_delay_alu instid0(VALU_DEP_3) | instskip(NEXT) | instid1(VALU_DEP_1)
	v_add_nc_u64_e32 v[34:35], v[40:41], v[34:35]
	v_add_co_u32 v5, vcc_lo, v34, v16
	s_delay_alu instid0(VALU_DEP_2) | instskip(NEXT) | instid1(VALU_DEP_4)
	v_add_co_ci_u32_e32 v40, vcc_lo, v35, v17, vcc_lo
	v_add_co_ci_u32_e32 v39, vcc_lo, 0, v39, vcc_lo
	s_delay_alu instid0(VALU_DEP_1) | instskip(NEXT) | instid1(VALU_DEP_1)
	v_add_nc_u64_e32 v[16:17], v[40:41], v[38:39]
	v_mul_u64_e32 v[34:35], s[22:23], v[16:17]
	s_delay_alu instid0(VALU_DEP_1) | instskip(NEXT) | instid1(VALU_DEP_2)
	v_sub_nc_u32_e32 v5, v36, v35
	v_sub_co_u32 v19, vcc_lo, v32, v34
	s_delay_alu instid0(VALU_DEP_1) | instskip(NEXT) | instid1(VALU_DEP_3)
	v_sub_co_ci_u32_e64 v36, null, v36, v35, vcc_lo
	v_subrev_co_ci_u32_e64 v5, null, s23, v5, vcc_lo
	s_delay_alu instid0(VALU_DEP_3) | instskip(SKIP_1) | instid1(VALU_DEP_3)
	v_sub_co_u32 v32, s3, v19, s22
	v_add_nc_u64_e32 v[34:35], 1, v[16:17]
	v_subrev_co_ci_u32_e64 v5, null, 0, v5, s3
	s_delay_alu instid0(VALU_DEP_3) | instskip(SKIP_1) | instid1(VALU_DEP_3)
	v_cmp_le_u32_e32 vcc_lo, s22, v32
	v_cndmask_b32_e64 v32, 0, -1, vcc_lo
	v_cmp_le_u32_e32 vcc_lo, s23, v5
	v_cndmask_b32_e64 v33, 0, -1, vcc_lo
	;; [unrolled: 2-line block ×4, first 2 shown]
	v_cmp_eq_u32_e32 vcc_lo, s23, v5
	v_cndmask_b32_e32 v5, v33, v32, vcc_lo
	v_cmp_eq_u32_e32 vcc_lo, s23, v36
	v_add_nc_u64_e32 v[32:33], 2, v[16:17]
	v_cndmask_b32_e32 v19, v37, v19, vcc_lo
	s_delay_alu instid0(VALU_DEP_4) | instskip(NEXT) | instid1(VALU_DEP_3)
	v_cmp_ne_u32_e32 vcc_lo, 0, v5
	v_cndmask_b32_e32 v5, v35, v33, vcc_lo
	s_delay_alu instid0(VALU_DEP_3) | instskip(SKIP_1) | instid1(VALU_DEP_1)
	v_cmp_ne_u32_e64 s3, 0, v19
	v_dual_cndmask_b32 v19, v34, v32, vcc_lo :: v_dual_bitop2_b32 v18, s20, v18 bitop3:0x14
	v_dual_cndmask_b32 v5, v17, v5, s3 :: v_dual_cndmask_b32 v16, v16, v19, s3
	s_delay_alu instid0(VALU_DEP_1) | instskip(NEXT) | instid1(VALU_DEP_2)
	v_dual_mov_b32 v19, v18 :: v_dual_bitop2_b32 v17, v5, v18 bitop3:0x14
	v_xor_b32_e32 v16, v16, v18
	s_delay_alu instid0(VALU_DEP_1)
	v_sub_nc_u64_e32 v[18:19], v[16:17], v[18:19]
                                        ; implicit-def: $vgpr16_vgpr17
.LBB38_12:                              ;   in Loop: Header=BB38_10 Depth=2
	s_and_not1_saveexec_b32 s3, s27
	s_cbranch_execz .LBB38_14
; %bb.13:                               ;   in Loop: Header=BB38_10 Depth=2
	v_cvt_f32_u32_e32 v5, s8
	v_mov_b32_e32 v19, v4
	s_delay_alu instid0(VALU_DEP_2) | instskip(SKIP_1) | instid1(TRANS32_DEP_1)
	v_rcp_iflag_f32_e32 v5, v5
	v_nop
	v_mul_f32_e32 v5, 0x4f7ffffe, v5
	s_delay_alu instid0(VALU_DEP_1) | instskip(NEXT) | instid1(VALU_DEP_1)
	v_cvt_u32_f32_e32 v5, v5
	v_mul_lo_u32 v17, s24, v5
	s_delay_alu instid0(VALU_DEP_1) | instskip(NEXT) | instid1(VALU_DEP_1)
	v_mul_hi_u32 v17, v5, v17
	v_add_nc_u32_e32 v5, v5, v17
	s_delay_alu instid0(VALU_DEP_1) | instskip(NEXT) | instid1(VALU_DEP_1)
	v_mul_hi_u32 v5, v16, v5
	v_mul_lo_u32 v17, v5, s8
	s_delay_alu instid0(VALU_DEP_1) | instskip(SKIP_1) | instid1(VALU_DEP_2)
	v_sub_nc_u32_e32 v16, v16, v17
	v_add_nc_u32_e32 v17, 1, v5
	v_subrev_nc_u32_e32 v18, s8, v16
	v_cmp_le_u32_e32 vcc_lo, s8, v16
	s_delay_alu instid0(VALU_DEP_2) | instskip(NEXT) | instid1(VALU_DEP_1)
	v_dual_cndmask_b32 v16, v16, v18 :: v_dual_cndmask_b32 v5, v5, v17
	v_cmp_le_u32_e32 vcc_lo, s8, v16
	s_delay_alu instid0(VALU_DEP_2) | instskip(NEXT) | instid1(VALU_DEP_1)
	v_add_nc_u32_e32 v17, 1, v5
	v_cndmask_b32_e32 v18, v5, v17, vcc_lo
.LBB38_14:                              ;   in Loop: Header=BB38_10 Depth=2
	s_or_b32 exec_lo, exec_lo, s3
	s_delay_alu instid0(VALU_DEP_1) | instskip(SKIP_2) | instid1(SALU_CYCLE_1)
	v_cmp_ne_u64_e64 s3, v[18:19], v[8:9]
	v_cmp_eq_u64_e32 vcc_lo, v[18:19], v[8:9]
	s_and_saveexec_b32 s16, s3
	s_xor_b32 s3, exec_lo, s16
; %bb.15:                               ;   in Loop: Header=BB38_10 Depth=2
	v_min_i64 v[6:7], v[18:19], v[6:7]
                                        ; implicit-def: $vgpr14_vgpr15
; %bb.16:                               ;   in Loop: Header=BB38_10 Depth=2
	s_or_saveexec_b32 s3, s3
	v_mov_b64_e32 v[16:17], v[10:11]
	s_xor_b32 exec_lo, exec_lo, s3
	s_cbranch_execz .LBB38_9
; %bb.17:                               ;   in Loop: Header=BB38_10 Depth=2
	v_mov_b64_e32 v[16:17], v[14:15]
	ds_store_b8 v20, v31 offset:32
	s_branch .LBB38_9
.LBB38_18:                              ;   in Loop: Header=BB38_7 Depth=1
	s_or_b32 exec_lo, exec_lo, s26
.LBB38_19:                              ;   in Loop: Header=BB38_7 Depth=1
	s_delay_alu instid0(SALU_CYCLE_1)
	s_or_b32 exec_lo, exec_lo, s25
	ds_bpermute_b32 v8, v23, v16
	ds_bpermute_b32 v9, v23, v17
	s_wait_dscnt 0x0
	ds_load_u8 v5, v20 offset:32
	v_min_i64 v[8:9], v[8:9], v[16:17]
	s_wait_dscnt 0x0
	v_and_b32_e32 v5, 1, v5
	s_delay_alu instid0(VALU_DEP_1)
	v_cmp_eq_u32_e32 vcc_lo, 1, v5
	s_and_b32 s16, s2, vcc_lo
	ds_bpermute_b32 v10, v24, v8
	ds_bpermute_b32 v11, v24, v9
	s_wait_dscnt 0x0
	v_min_i64 v[8:9], v[10:11], v[8:9]
	ds_bpermute_b32 v10, v25, v8
	ds_bpermute_b32 v11, v25, v9
	s_and_saveexec_b32 s3, s16
	s_cbranch_execz .LBB38_6
; %bb.20:                               ;   in Loop: Header=BB38_7 Depth=1
	ds_load_b64 v[8:9], v21
	s_wait_dscnt 0x0
	v_add_nc_u64_e32 v[8:9], 1, v[8:9]
	ds_store_b64 v21, v[8:9]
	s_branch .LBB38_6
.LBB38_21:
	s_or_b32 exec_lo, exec_lo, s13
.LBB38_22:
	s_delay_alu instid0(SALU_CYCLE_1)
	s_mov_b32 s2, exec_lo
	v_cmpx_eq_u32_e32 0, v22
	s_cbranch_execz .LBB38_25
; %bb.23:
	s_clause 0x1
	s_load_b32 s6, s[0:1], 0x40
	s_load_b64 s[2:3], s[0:1], 0x48
	s_wait_kmcnt 0x0
	v_dual_mov_b32 v1, 0 :: v_dual_mov_b32 v0, s6
	global_store_b64 v1, v[0:1], s[2:3]
	s_wait_xcnt 0x0
	v_lshl_or_b32 v0, s12, 2, v20
	s_delay_alu instid0(VALU_DEP_1)
	v_cmp_gt_i64_e32 vcc_lo, s[4:5], v[0:1]
	s_and_b32 exec_lo, exec_lo, vcc_lo
	s_cbranch_execz .LBB38_25
; %bb.24:
	ds_load_b64 v[2:3], v21
	v_add_nc_u32_e32 v0, 1, v0
	s_wait_dscnt 0x0
	global_store_b64 v0, v[2:3], s[2:3] scale_offset
.LBB38_25:
	s_endpgm
	.section	.rodata,"a",@progbits
	.p2align	6, 0x0
	.amdhsa_kernel _ZN9rocsparseL46csr2bsr_nnz_wavefront_per_row_multipass_kernelILj256ELj64ELj16EllEEvT3_S1_S1_S1_S1_21rocsparse_index_base_PKT2_PKS1_S2_PS3_
		.amdhsa_group_segment_fixed_size 40
		.amdhsa_private_segment_fixed_size 0
		.amdhsa_kernarg_size 80
		.amdhsa_user_sgpr_count 2
		.amdhsa_user_sgpr_dispatch_ptr 0
		.amdhsa_user_sgpr_queue_ptr 0
		.amdhsa_user_sgpr_kernarg_segment_ptr 1
		.amdhsa_user_sgpr_dispatch_id 0
		.amdhsa_user_sgpr_kernarg_preload_length 0
		.amdhsa_user_sgpr_kernarg_preload_offset 0
		.amdhsa_user_sgpr_private_segment_size 0
		.amdhsa_wavefront_size32 1
		.amdhsa_uses_dynamic_stack 0
		.amdhsa_enable_private_segment 0
		.amdhsa_system_sgpr_workgroup_id_x 1
		.amdhsa_system_sgpr_workgroup_id_y 0
		.amdhsa_system_sgpr_workgroup_id_z 0
		.amdhsa_system_sgpr_workgroup_info 0
		.amdhsa_system_vgpr_workitem_id 0
		.amdhsa_next_free_vgpr 42
		.amdhsa_next_free_sgpr 38
		.amdhsa_named_barrier_count 0
		.amdhsa_reserve_vcc 1
		.amdhsa_float_round_mode_32 0
		.amdhsa_float_round_mode_16_64 0
		.amdhsa_float_denorm_mode_32 3
		.amdhsa_float_denorm_mode_16_64 3
		.amdhsa_fp16_overflow 0
		.amdhsa_memory_ordered 1
		.amdhsa_forward_progress 1
		.amdhsa_inst_pref_size 16
		.amdhsa_round_robin_scheduling 0
		.amdhsa_exception_fp_ieee_invalid_op 0
		.amdhsa_exception_fp_denorm_src 0
		.amdhsa_exception_fp_ieee_div_zero 0
		.amdhsa_exception_fp_ieee_overflow 0
		.amdhsa_exception_fp_ieee_underflow 0
		.amdhsa_exception_fp_ieee_inexact 0
		.amdhsa_exception_int_div_zero 0
	.end_amdhsa_kernel
	.section	.text._ZN9rocsparseL46csr2bsr_nnz_wavefront_per_row_multipass_kernelILj256ELj64ELj16EllEEvT3_S1_S1_S1_S1_21rocsparse_index_base_PKT2_PKS1_S2_PS3_,"axG",@progbits,_ZN9rocsparseL46csr2bsr_nnz_wavefront_per_row_multipass_kernelILj256ELj64ELj16EllEEvT3_S1_S1_S1_S1_21rocsparse_index_base_PKT2_PKS1_S2_PS3_,comdat
.Lfunc_end38:
	.size	_ZN9rocsparseL46csr2bsr_nnz_wavefront_per_row_multipass_kernelILj256ELj64ELj16EllEEvT3_S1_S1_S1_S1_21rocsparse_index_base_PKT2_PKS1_S2_PS3_, .Lfunc_end38-_ZN9rocsparseL46csr2bsr_nnz_wavefront_per_row_multipass_kernelILj256ELj64ELj16EllEEvT3_S1_S1_S1_S1_21rocsparse_index_base_PKT2_PKS1_S2_PS3_
                                        ; -- End function
	.set _ZN9rocsparseL46csr2bsr_nnz_wavefront_per_row_multipass_kernelILj256ELj64ELj16EllEEvT3_S1_S1_S1_S1_21rocsparse_index_base_PKT2_PKS1_S2_PS3_.num_vgpr, 42
	.set _ZN9rocsparseL46csr2bsr_nnz_wavefront_per_row_multipass_kernelILj256ELj64ELj16EllEEvT3_S1_S1_S1_S1_21rocsparse_index_base_PKT2_PKS1_S2_PS3_.num_agpr, 0
	.set _ZN9rocsparseL46csr2bsr_nnz_wavefront_per_row_multipass_kernelILj256ELj64ELj16EllEEvT3_S1_S1_S1_S1_21rocsparse_index_base_PKT2_PKS1_S2_PS3_.numbered_sgpr, 38
	.set _ZN9rocsparseL46csr2bsr_nnz_wavefront_per_row_multipass_kernelILj256ELj64ELj16EllEEvT3_S1_S1_S1_S1_21rocsparse_index_base_PKT2_PKS1_S2_PS3_.num_named_barrier, 0
	.set _ZN9rocsparseL46csr2bsr_nnz_wavefront_per_row_multipass_kernelILj256ELj64ELj16EllEEvT3_S1_S1_S1_S1_21rocsparse_index_base_PKT2_PKS1_S2_PS3_.private_seg_size, 0
	.set _ZN9rocsparseL46csr2bsr_nnz_wavefront_per_row_multipass_kernelILj256ELj64ELj16EllEEvT3_S1_S1_S1_S1_21rocsparse_index_base_PKT2_PKS1_S2_PS3_.uses_vcc, 1
	.set _ZN9rocsparseL46csr2bsr_nnz_wavefront_per_row_multipass_kernelILj256ELj64ELj16EllEEvT3_S1_S1_S1_S1_21rocsparse_index_base_PKT2_PKS1_S2_PS3_.uses_flat_scratch, 0
	.set _ZN9rocsparseL46csr2bsr_nnz_wavefront_per_row_multipass_kernelILj256ELj64ELj16EllEEvT3_S1_S1_S1_S1_21rocsparse_index_base_PKT2_PKS1_S2_PS3_.has_dyn_sized_stack, 0
	.set _ZN9rocsparseL46csr2bsr_nnz_wavefront_per_row_multipass_kernelILj256ELj64ELj16EllEEvT3_S1_S1_S1_S1_21rocsparse_index_base_PKT2_PKS1_S2_PS3_.has_recursion, 0
	.set _ZN9rocsparseL46csr2bsr_nnz_wavefront_per_row_multipass_kernelILj256ELj64ELj16EllEEvT3_S1_S1_S1_S1_21rocsparse_index_base_PKT2_PKS1_S2_PS3_.has_indirect_call, 0
	.section	.AMDGPU.csdata,"",@progbits
; Kernel info:
; codeLenInByte = 1972
; TotalNumSgprs: 40
; NumVgprs: 42
; ScratchSize: 0
; MemoryBound: 0
; FloatMode: 240
; IeeeMode: 1
; LDSByteSize: 40 bytes/workgroup (compile time only)
; SGPRBlocks: 0
; VGPRBlocks: 2
; NumSGPRsForWavesPerEU: 40
; NumVGPRsForWavesPerEU: 42
; NamedBarCnt: 0
; Occupancy: 16
; WaveLimiterHint : 0
; COMPUTE_PGM_RSRC2:SCRATCH_EN: 0
; COMPUTE_PGM_RSRC2:USER_SGPR: 2
; COMPUTE_PGM_RSRC2:TRAP_HANDLER: 0
; COMPUTE_PGM_RSRC2:TGID_X_EN: 1
; COMPUTE_PGM_RSRC2:TGID_Y_EN: 0
; COMPUTE_PGM_RSRC2:TGID_Z_EN: 0
; COMPUTE_PGM_RSRC2:TIDIG_COMP_CNT: 0
	.section	.text._ZN9rocsparseL46csr2bsr_nnz_wavefront_per_row_multipass_kernelILj256ELj32ELj16EllEEvT3_S1_S1_S1_S1_21rocsparse_index_base_PKT2_PKS1_S2_PS3_,"axG",@progbits,_ZN9rocsparseL46csr2bsr_nnz_wavefront_per_row_multipass_kernelILj256ELj32ELj16EllEEvT3_S1_S1_S1_S1_21rocsparse_index_base_PKT2_PKS1_S2_PS3_,comdat
	.globl	_ZN9rocsparseL46csr2bsr_nnz_wavefront_per_row_multipass_kernelILj256ELj32ELj16EllEEvT3_S1_S1_S1_S1_21rocsparse_index_base_PKT2_PKS1_S2_PS3_ ; -- Begin function _ZN9rocsparseL46csr2bsr_nnz_wavefront_per_row_multipass_kernelILj256ELj32ELj16EllEEvT3_S1_S1_S1_S1_21rocsparse_index_base_PKT2_PKS1_S2_PS3_
	.p2align	8
	.type	_ZN9rocsparseL46csr2bsr_nnz_wavefront_per_row_multipass_kernelILj256ELj32ELj16EllEEvT3_S1_S1_S1_S1_21rocsparse_index_base_PKT2_PKS1_S2_PS3_,@function
_ZN9rocsparseL46csr2bsr_nnz_wavefront_per_row_multipass_kernelILj256ELj32ELj16EllEEvT3_S1_S1_S1_S1_21rocsparse_index_base_PKT2_PKS1_S2_PS3_: ; @_ZN9rocsparseL46csr2bsr_nnz_wavefront_per_row_multipass_kernelILj256ELj32ELj16EllEEvT3_S1_S1_S1_S1_21rocsparse_index_base_PKT2_PKS1_S2_PS3_
; %bb.0:
	s_bfe_u32 s2, ttmp6, 0x4000c
	s_clause 0x1
	s_load_b96 s[8:10], s[0:1], 0x20
	s_load_b64 s[14:15], s[0:1], 0x30
	s_add_co_i32 s2, s2, 1
	s_and_b32 s3, ttmp6, 15
	s_mul_i32 s2, ttmp9, s2
	s_getreg_b32 s4, hwreg(HW_REG_IB_STS2, 6, 4)
	s_add_co_i32 s3, s3, s2
	s_cmp_eq_u32 s4, 0
	v_dual_mov_b32 v7, 0 :: v_dual_lshrrev_b32 v20, 5, v0
	s_cselect_b32 s12, ttmp9, s3
	v_bfe_u32 v6, v0, 1, 4
	s_ashr_i32 s13, s12, 31
	v_mov_b64_e32 v[10:11], 0
	s_lshl_b64 s[2:3], s[12:13], 3
	s_delay_alu instid0(SALU_CYCLE_1) | instskip(SKIP_3) | instid1(VALU_DEP_1)
	v_dual_lshlrev_b32 v21, 3, v20 :: v_dual_bitop2_b32 v1, s2, v20 bitop3:0x54
	s_mov_b32 s11, 0
	s_load_b128 s[4:7], s[0:1], 0x10
	s_wait_kmcnt 0x0
	v_mad_nc_u64_u32 v[4:5], v1, s8, v[6:7]
	s_delay_alu instid0(VALU_DEP_1) | instskip(SKIP_1) | instid1(VALU_DEP_1)
	v_mad_u32 v2, s3, s8, v5
	s_load_b64 s[2:3], s[0:1], 0x0
	v_mad_u32 v5, v1, s9, v2
	v_mov_b64_e32 v[2:3], 0
	ds_store_b64 v21, v[2:3]
	s_wait_dscnt 0x0
	s_barrier_signal -1
	s_wait_kmcnt 0x0
	v_cmp_gt_i64_e32 vcc_lo, s[2:3], v[4:5]
	v_cmp_gt_i64_e64 s2, s[8:9], v[6:7]
	s_barrier_wait -1
	s_and_b32 s2, s2, vcc_lo
	s_delay_alu instid0(SALU_CYCLE_1)
	s_and_saveexec_b32 s3, s2
	s_cbranch_execz .LBB39_2
; %bb.1:
	v_lshl_add_u64 v[6:7], v[4:5], 3, s[14:15]
	global_load_b64 v[6:7], v[6:7], off
	s_wait_loadcnt 0x0
	v_sub_nc_u64_e64 v[10:11], v[6:7], s[10:11]
.LBB39_2:
	s_or_b32 exec_lo, exec_lo, s3
	s_and_saveexec_b32 s3, s2
	s_cbranch_execz .LBB39_4
; %bb.3:
	v_lshl_add_u64 v[2:3], v[4:5], 3, s[14:15]
	global_load_b64 v[2:3], v[2:3], off offset:8
	s_wait_loadcnt 0x0
	v_sub_nc_u64_e64 v[2:3], v[2:3], s[10:11]
.LBB39_4:
	s_or_b32 exec_lo, exec_lo, s3
	v_cmp_lt_i64_e64 s2, s[6:7], 1
	v_and_b32_e32 v22, 31, v0
	s_and_b32 vcc_lo, exec_lo, s2
	s_delay_alu instid0(VALU_DEP_1)
	v_cmp_eq_u32_e64 s2, 0, v22
	s_cbranch_vccnz .LBB39_22
; %bb.5:
	v_mbcnt_lo_u32_b32 v5, -1, 0
	v_mov_b32_e32 v4, 0
	s_load_b64 s[14:15], s[0:1], 0x38
	v_dual_mov_b32 v29, 0x7c :: v_dual_mov_b32 v30, 1
	s_delay_alu instid0(VALU_DEP_3) | instskip(NEXT) | instid1(VALU_DEP_3)
	v_xor_b32_e32 v6, 1, v5
	v_dual_mov_b32 v1, v4 :: v_dual_bitop2_b32 v0, 1, v0 bitop3:0x40
	v_lshl_or_b32 v24, v5, 2, 4
	s_mov_b32 s17, 0
	s_delay_alu instid0(VALU_DEP_3)
	v_cmp_gt_i32_e32 vcc_lo, 32, v6
	v_xor_b32_e32 v7, 16, v5
	s_mov_b32 s11, s17
	s_mov_b64 s[18:19], 0xffffffff
	s_ashr_i32 s20, s9, 31
	v_cndmask_b32_e32 v6, v5, v6, vcc_lo
	v_cmp_gt_i32_e32 vcc_lo, 32, v7
	v_xor_b32_e32 v8, 8, v5
	v_xor_b32_e32 v9, 4, v5
	s_sub_co_i32 s24, 0, s8
	v_dual_lshlrev_b32 v23, 2, v6 :: v_dual_cndmask_b32 v7, v5, v7, vcc_lo
	s_delay_alu instid0(VALU_DEP_3) | instskip(SKIP_4) | instid1(VALU_DEP_2)
	v_cmp_gt_i32_e32 vcc_lo, 32, v8
	v_xor_b32_e32 v6, 2, v5
	s_mov_b32 s13, 0
	v_cndmask_b32_e32 v8, v5, v8, vcc_lo
	v_cmp_gt_i32_e32 vcc_lo, 32, v9
	v_dual_lshlrev_b32 v25, 2, v7 :: v_dual_lshlrev_b32 v26, 2, v8
	v_cndmask_b32_e32 v9, v5, v9, vcc_lo
	v_cmp_gt_i32_e32 vcc_lo, 32, v6
	s_delay_alu instid0(VALU_DEP_2) | instskip(SKIP_1) | instid1(VALU_DEP_2)
	v_dual_cndmask_b32 v6, v5, v6 :: v_dual_lshlrev_b32 v27, 2, v9
	v_mov_b64_e32 v[8:9], 0
	v_lshlrev_b32_e32 v28, 2, v6
	s_branch .LBB39_7
.LBB39_6:                               ;   in Loop: Header=BB39_7 Depth=1
	s_or_b32 exec_lo, exec_lo, s3
	ds_bpermute_b32 v8, v25, v6
	ds_bpermute_b32 v9, v25, v7
	s_wait_dscnt 0x0
	v_min_i64 v[6:7], v[8:9], v[6:7]
	ds_bpermute_b32 v8, v26, v6
	ds_bpermute_b32 v9, v26, v7
	s_wait_dscnt 0x0
	v_min_i64 v[6:7], v[8:9], v[6:7]
	;; [unrolled: 4-line block ×5, first 2 shown]
	ds_bpermute_b32 v8, v29, v6
	ds_bpermute_b32 v9, v29, v7
	s_wait_dscnt 0x0
	v_cmp_le_i64_e32 vcc_lo, s[6:7], v[8:9]
	s_or_b32 s13, vcc_lo, s13
	s_delay_alu instid0(SALU_CYCLE_1)
	s_and_not1_b32 exec_lo, exec_lo, s13
	s_cbranch_execz .LBB39_21
.LBB39_7:                               ; =>This Loop Header: Depth=1
                                        ;     Child Loop BB39_10 Depth 2
	v_add_nc_u64_e32 v[10:11], v[10:11], v[0:1]
	v_mov_b64_e32 v[6:7], s[6:7]
	v_mov_b64_e32 v[16:17], v[2:3]
	s_mov_b32 s25, exec_lo
	ds_store_b8 v20, v4 offset:64
	s_wait_dscnt 0x0
	v_cmpx_lt_i64_e64 v[10:11], v[2:3]
	s_cbranch_execz .LBB39_19
; %bb.8:                                ;   in Loop: Header=BB39_7 Depth=1
	v_mov_b64_e32 v[6:7], s[6:7]
	v_mov_b64_e32 v[14:15], v[2:3]
	s_wait_kmcnt 0x0
	v_lshl_add_u64 v[12:13], v[10:11], 3, s[14:15]
	s_mov_b32 s26, 0
	s_branch .LBB39_10
.LBB39_9:                               ;   in Loop: Header=BB39_10 Depth=2
	s_or_b32 exec_lo, exec_lo, s3
	v_add_nc_u64_e32 v[10:11], 2, v[10:11]
	s_xor_b32 s16, vcc_lo, -1
	v_add_nc_u64_e32 v[12:13], 16, v[12:13]
	v_mov_b64_e32 v[14:15], v[16:17]
	s_delay_alu instid0(VALU_DEP_3) | instskip(SKIP_1) | instid1(SALU_CYCLE_1)
	v_cmp_ge_i64_e64 s3, v[10:11], v[2:3]
	s_or_b32 s3, s16, s3
	s_and_b32 s3, exec_lo, s3
	s_delay_alu instid0(SALU_CYCLE_1) | instskip(NEXT) | instid1(SALU_CYCLE_1)
	s_or_b32 s26, s3, s26
	s_and_not1_b32 exec_lo, exec_lo, s26
	s_cbranch_execz .LBB39_18
.LBB39_10:                              ;   Parent Loop BB39_7 Depth=1
                                        ; =>  This Inner Loop Header: Depth=2
	global_load_b64 v[16:17], v[12:13], off
                                        ; implicit-def: $vgpr18_vgpr19
	s_mov_b32 s3, exec_lo
	s_wait_loadcnt 0x0
	v_sub_nc_u64_e64 v[16:17], v[16:17], s[10:11]
	s_delay_alu instid0(VALU_DEP_1) | instskip(SKIP_1) | instid1(VALU_DEP_1)
	v_or_b32_e32 v5, s9, v17
	s_wait_xcnt 0x0
	v_cmpx_ne_u64_e32 0, v[4:5]
	s_xor_b32 s27, exec_lo, s3
	s_cbranch_execz .LBB39_12
; %bb.11:                               ;   in Loop: Header=BB39_10 Depth=2
	s_mov_b32 s21, s20
	v_dual_mov_b32 v33, v4 :: v_dual_ashrrev_i32 v18, 31, v17
	s_add_nc_u64 s[22:23], s[8:9], s[20:21]
	v_mov_b32_e32 v41, v4
	s_xor_b64 s[22:23], s[22:23], s[20:21]
	s_delay_alu instid0(VALU_DEP_2) | instskip(SKIP_3) | instid1(VALU_DEP_1)
	v_mov_b32_e32 v19, v18
	s_cvt_f32_u32 s3, s22
	s_cvt_f32_u32 s16, s23
	s_sub_nc_u64 s[30:31], 0, s[22:23]
	v_add_nc_u64_e32 v[16:17], v[16:17], v[18:19]
	s_delay_alu instid0(SALU_CYCLE_1) | instskip(SKIP_1) | instid1(SALU_CYCLE_2)
	s_fmamk_f32 s3, s16, 0x4f800000, s3
	v_mov_b32_e32 v37, v4
	v_s_rcp_f32 s3, s3
	s_delay_alu instid0(VALU_DEP_2) | instskip(NEXT) | instid1(VALU_DEP_3)
	v_xor_b32_e32 v32, v16, v18
	v_xor_b32_e32 v36, v17, v18
	;; [unrolled: 1-line block ×3, first 2 shown]
	s_delay_alu instid0(TRANS32_DEP_1) | instskip(NEXT) | instid1(SALU_CYCLE_3)
	s_mul_f32 s3, s3, 0x5f7ffffc
	s_mul_f32 s16, s3, 0x2f800000
	s_delay_alu instid0(SALU_CYCLE_3) | instskip(NEXT) | instid1(SALU_CYCLE_3)
	s_trunc_f32 s16, s16
	s_fmamk_f32 s3, s16, 0xcf800000, s3
	s_cvt_u32_f32 s29, s16
	s_delay_alu instid0(SALU_CYCLE_2) | instskip(NEXT) | instid1(SALU_CYCLE_3)
	s_cvt_u32_f32 s28, s3
	s_mul_u64 s[34:35], s[30:31], s[28:29]
	s_delay_alu instid0(SALU_CYCLE_1)
	s_mul_hi_u32 s37, s28, s35
	s_mul_i32 s36, s28, s35
	s_mul_hi_u32 s16, s28, s34
	s_mul_i32 s21, s29, s34
	s_add_nc_u64 s[36:37], s[16:17], s[36:37]
	s_mul_hi_u32 s3, s29, s34
	s_mul_hi_u32 s33, s29, s35
	s_add_co_u32 s16, s36, s21
	s_add_co_ci_u32 s16, s37, s3
	s_mul_i32 s34, s29, s35
	s_add_co_ci_u32 s35, s33, 0
	s_delay_alu instid0(SALU_CYCLE_1) | instskip(NEXT) | instid1(SALU_CYCLE_1)
	s_add_nc_u64 s[34:35], s[16:17], s[34:35]
	s_add_co_u32 s28, s28, s34
	s_cselect_b32 s3, -1, 0
	s_delay_alu instid0(SALU_CYCLE_1) | instskip(SKIP_1) | instid1(SALU_CYCLE_1)
	s_cmp_lg_u32 s3, 0
	s_add_co_ci_u32 s29, s29, s35
	s_mul_u64 s[30:31], s[30:31], s[28:29]
	s_delay_alu instid0(SALU_CYCLE_1)
	s_mul_hi_u32 s35, s28, s31
	s_mul_i32 s34, s28, s31
	s_mul_hi_u32 s16, s28, s30
	s_mul_i32 s21, s29, s30
	s_add_nc_u64 s[34:35], s[16:17], s[34:35]
	s_mul_hi_u32 s3, s29, s30
	s_mul_hi_u32 s33, s29, s31
	s_add_co_u32 s16, s34, s21
	s_add_co_ci_u32 s16, s35, s3
	s_mul_i32 s30, s29, s31
	s_add_co_ci_u32 s31, s33, 0
	s_delay_alu instid0(SALU_CYCLE_1) | instskip(NEXT) | instid1(SALU_CYCLE_1)
	s_add_nc_u64 s[30:31], s[16:17], s[30:31]
	s_add_co_u32 s28, s28, s30
	s_cselect_b32 s3, -1, 0
	v_mul_hi_u32 v40, v32, s28
	s_cmp_lg_u32 s3, 0
	s_add_co_ci_u32 s16, s29, s31
	s_and_b64 s[30:31], s[28:29], s[18:19]
	v_mul_u64_e32 v[34:35], s[16:17], v[32:33]
	v_mul_u64_e32 v[16:17], s[30:31], v[36:37]
	;; [unrolled: 1-line block ×3, first 2 shown]
	s_delay_alu instid0(VALU_DEP_3) | instskip(NEXT) | instid1(VALU_DEP_1)
	v_add_nc_u64_e32 v[34:35], v[40:41], v[34:35]
	v_add_co_u32 v5, vcc_lo, v34, v16
	s_delay_alu instid0(VALU_DEP_2) | instskip(NEXT) | instid1(VALU_DEP_4)
	v_add_co_ci_u32_e32 v40, vcc_lo, v35, v17, vcc_lo
	v_add_co_ci_u32_e32 v39, vcc_lo, 0, v39, vcc_lo
	s_delay_alu instid0(VALU_DEP_1) | instskip(NEXT) | instid1(VALU_DEP_1)
	v_add_nc_u64_e32 v[16:17], v[40:41], v[38:39]
	v_mul_u64_e32 v[34:35], s[22:23], v[16:17]
	s_delay_alu instid0(VALU_DEP_1) | instskip(NEXT) | instid1(VALU_DEP_2)
	v_sub_nc_u32_e32 v5, v36, v35
	v_sub_co_u32 v19, vcc_lo, v32, v34
	s_delay_alu instid0(VALU_DEP_1) | instskip(NEXT) | instid1(VALU_DEP_3)
	v_sub_co_ci_u32_e64 v36, null, v36, v35, vcc_lo
	v_subrev_co_ci_u32_e64 v5, null, s23, v5, vcc_lo
	s_delay_alu instid0(VALU_DEP_3) | instskip(SKIP_1) | instid1(VALU_DEP_3)
	v_sub_co_u32 v31, s3, v19, s22
	v_add_nc_u64_e32 v[34:35], 1, v[16:17]
	v_subrev_co_ci_u32_e64 v5, null, 0, v5, s3
	s_delay_alu instid0(VALU_DEP_3) | instskip(SKIP_1) | instid1(VALU_DEP_3)
	v_cmp_le_u32_e32 vcc_lo, s22, v31
	v_cndmask_b32_e64 v31, 0, -1, vcc_lo
	v_cmp_le_u32_e32 vcc_lo, s23, v5
	v_cndmask_b32_e64 v32, 0, -1, vcc_lo
	;; [unrolled: 2-line block ×4, first 2 shown]
	v_cmp_eq_u32_e32 vcc_lo, s23, v5
	v_cndmask_b32_e32 v5, v32, v31, vcc_lo
	v_cmp_eq_u32_e32 vcc_lo, s23, v36
	v_add_nc_u64_e32 v[32:33], 2, v[16:17]
	v_cndmask_b32_e32 v19, v37, v19, vcc_lo
	s_delay_alu instid0(VALU_DEP_4) | instskip(NEXT) | instid1(VALU_DEP_2)
	v_cmp_ne_u32_e32 vcc_lo, 0, v5
	v_cmp_ne_u32_e64 s3, 0, v19
	s_delay_alu instid0(VALU_DEP_4) | instskip(NEXT) | instid1(VALU_DEP_1)
	v_dual_cndmask_b32 v19, v34, v32, vcc_lo :: v_dual_cndmask_b32 v5, v35, v33, vcc_lo
	v_dual_cndmask_b32 v16, v16, v19, s3 :: v_dual_cndmask_b32 v5, v17, v5, s3
	s_delay_alu instid0(VALU_DEP_1) | instskip(NEXT) | instid1(VALU_DEP_2)
	v_dual_mov_b32 v19, v18 :: v_dual_bitop2_b32 v16, v16, v18 bitop3:0x14
	v_xor_b32_e32 v17, v5, v18
	s_delay_alu instid0(VALU_DEP_1)
	v_sub_nc_u64_e32 v[18:19], v[16:17], v[18:19]
                                        ; implicit-def: $vgpr16_vgpr17
.LBB39_12:                              ;   in Loop: Header=BB39_10 Depth=2
	s_and_not1_saveexec_b32 s3, s27
	s_cbranch_execz .LBB39_14
; %bb.13:                               ;   in Loop: Header=BB39_10 Depth=2
	v_cvt_f32_u32_e32 v5, s8
	v_mov_b32_e32 v19, v4
	s_delay_alu instid0(VALU_DEP_2) | instskip(SKIP_1) | instid1(TRANS32_DEP_1)
	v_rcp_iflag_f32_e32 v5, v5
	v_nop
	v_mul_f32_e32 v5, 0x4f7ffffe, v5
	s_delay_alu instid0(VALU_DEP_1) | instskip(NEXT) | instid1(VALU_DEP_1)
	v_cvt_u32_f32_e32 v5, v5
	v_mul_lo_u32 v17, s24, v5
	s_delay_alu instid0(VALU_DEP_1) | instskip(NEXT) | instid1(VALU_DEP_1)
	v_mul_hi_u32 v17, v5, v17
	v_add_nc_u32_e32 v5, v5, v17
	s_delay_alu instid0(VALU_DEP_1) | instskip(NEXT) | instid1(VALU_DEP_1)
	v_mul_hi_u32 v5, v16, v5
	v_mul_lo_u32 v17, v5, s8
	s_delay_alu instid0(VALU_DEP_1) | instskip(SKIP_1) | instid1(VALU_DEP_2)
	v_sub_nc_u32_e32 v16, v16, v17
	v_add_nc_u32_e32 v17, 1, v5
	v_subrev_nc_u32_e32 v18, s8, v16
	v_cmp_le_u32_e32 vcc_lo, s8, v16
	s_delay_alu instid0(VALU_DEP_2) | instskip(NEXT) | instid1(VALU_DEP_1)
	v_dual_cndmask_b32 v16, v16, v18 :: v_dual_cndmask_b32 v5, v5, v17
	v_cmp_le_u32_e32 vcc_lo, s8, v16
	s_delay_alu instid0(VALU_DEP_2) | instskip(NEXT) | instid1(VALU_DEP_1)
	v_add_nc_u32_e32 v17, 1, v5
	v_cndmask_b32_e32 v18, v5, v17, vcc_lo
.LBB39_14:                              ;   in Loop: Header=BB39_10 Depth=2
	s_or_b32 exec_lo, exec_lo, s3
	s_delay_alu instid0(VALU_DEP_1) | instskip(SKIP_2) | instid1(SALU_CYCLE_1)
	v_cmp_ne_u64_e64 s3, v[18:19], v[8:9]
	v_cmp_eq_u64_e32 vcc_lo, v[18:19], v[8:9]
	s_and_saveexec_b32 s16, s3
	s_xor_b32 s3, exec_lo, s16
; %bb.15:                               ;   in Loop: Header=BB39_10 Depth=2
	v_min_i64 v[6:7], v[18:19], v[6:7]
                                        ; implicit-def: $vgpr14_vgpr15
; %bb.16:                               ;   in Loop: Header=BB39_10 Depth=2
	s_or_saveexec_b32 s3, s3
	v_mov_b64_e32 v[16:17], v[10:11]
	s_xor_b32 exec_lo, exec_lo, s3
	s_cbranch_execz .LBB39_9
; %bb.17:                               ;   in Loop: Header=BB39_10 Depth=2
	v_mov_b64_e32 v[16:17], v[14:15]
	ds_store_b8 v20, v30 offset:64
	s_branch .LBB39_9
.LBB39_18:                              ;   in Loop: Header=BB39_7 Depth=1
	s_or_b32 exec_lo, exec_lo, s26
.LBB39_19:                              ;   in Loop: Header=BB39_7 Depth=1
	s_delay_alu instid0(SALU_CYCLE_1)
	s_or_b32 exec_lo, exec_lo, s25
	ds_bpermute_b32 v8, v23, v16
	ds_bpermute_b32 v9, v23, v17
	s_wait_dscnt 0x0
	ds_load_u8 v5, v20 offset:64
	v_min_i64 v[8:9], v[8:9], v[16:17]
	s_wait_dscnt 0x0
	v_and_b32_e32 v5, 1, v5
	s_delay_alu instid0(VALU_DEP_1)
	v_cmp_eq_u32_e32 vcc_lo, 1, v5
	s_and_b32 s16, s2, vcc_lo
	ds_bpermute_b32 v10, v24, v8
	ds_bpermute_b32 v11, v24, v9
	s_and_saveexec_b32 s3, s16
	s_cbranch_execz .LBB39_6
; %bb.20:                               ;   in Loop: Header=BB39_7 Depth=1
	ds_load_b64 v[8:9], v21
	s_wait_dscnt 0x0
	v_add_nc_u64_e32 v[8:9], 1, v[8:9]
	ds_store_b64 v21, v[8:9]
	s_branch .LBB39_6
.LBB39_21:
	s_or_b32 exec_lo, exec_lo, s13
.LBB39_22:
	s_delay_alu instid0(SALU_CYCLE_1)
	s_mov_b32 s2, exec_lo
	v_cmpx_eq_u32_e32 0, v22
	s_cbranch_execz .LBB39_25
; %bb.23:
	s_clause 0x1
	s_load_b32 s6, s[0:1], 0x40
	s_load_b64 s[2:3], s[0:1], 0x48
	s_wait_kmcnt 0x0
	v_dual_mov_b32 v1, 0 :: v_dual_mov_b32 v0, s6
	global_store_b64 v1, v[0:1], s[2:3]
	s_wait_xcnt 0x0
	v_lshl_or_b32 v0, s12, 3, v20
	s_delay_alu instid0(VALU_DEP_1)
	v_cmp_gt_i64_e32 vcc_lo, s[4:5], v[0:1]
	s_and_b32 exec_lo, exec_lo, vcc_lo
	s_cbranch_execz .LBB39_25
; %bb.24:
	ds_load_b64 v[2:3], v21
	v_add_nc_u32_e32 v0, 1, v0
	s_wait_dscnt 0x0
	global_store_b64 v0, v[2:3], s[2:3] scale_offset
.LBB39_25:
	s_endpgm
	.section	.rodata,"a",@progbits
	.p2align	6, 0x0
	.amdhsa_kernel _ZN9rocsparseL46csr2bsr_nnz_wavefront_per_row_multipass_kernelILj256ELj32ELj16EllEEvT3_S1_S1_S1_S1_21rocsparse_index_base_PKT2_PKS1_S2_PS3_
		.amdhsa_group_segment_fixed_size 72
		.amdhsa_private_segment_fixed_size 0
		.amdhsa_kernarg_size 80
		.amdhsa_user_sgpr_count 2
		.amdhsa_user_sgpr_dispatch_ptr 0
		.amdhsa_user_sgpr_queue_ptr 0
		.amdhsa_user_sgpr_kernarg_segment_ptr 1
		.amdhsa_user_sgpr_dispatch_id 0
		.amdhsa_user_sgpr_kernarg_preload_length 0
		.amdhsa_user_sgpr_kernarg_preload_offset 0
		.amdhsa_user_sgpr_private_segment_size 0
		.amdhsa_wavefront_size32 1
		.amdhsa_uses_dynamic_stack 0
		.amdhsa_enable_private_segment 0
		.amdhsa_system_sgpr_workgroup_id_x 1
		.amdhsa_system_sgpr_workgroup_id_y 0
		.amdhsa_system_sgpr_workgroup_id_z 0
		.amdhsa_system_sgpr_workgroup_info 0
		.amdhsa_system_vgpr_workitem_id 0
		.amdhsa_next_free_vgpr 42
		.amdhsa_next_free_sgpr 38
		.amdhsa_named_barrier_count 0
		.amdhsa_reserve_vcc 1
		.amdhsa_float_round_mode_32 0
		.amdhsa_float_round_mode_16_64 0
		.amdhsa_float_denorm_mode_32 3
		.amdhsa_float_denorm_mode_16_64 3
		.amdhsa_fp16_overflow 0
		.amdhsa_memory_ordered 1
		.amdhsa_forward_progress 1
		.amdhsa_inst_pref_size 15
		.amdhsa_round_robin_scheduling 0
		.amdhsa_exception_fp_ieee_invalid_op 0
		.amdhsa_exception_fp_denorm_src 0
		.amdhsa_exception_fp_ieee_div_zero 0
		.amdhsa_exception_fp_ieee_overflow 0
		.amdhsa_exception_fp_ieee_underflow 0
		.amdhsa_exception_fp_ieee_inexact 0
		.amdhsa_exception_int_div_zero 0
	.end_amdhsa_kernel
	.section	.text._ZN9rocsparseL46csr2bsr_nnz_wavefront_per_row_multipass_kernelILj256ELj32ELj16EllEEvT3_S1_S1_S1_S1_21rocsparse_index_base_PKT2_PKS1_S2_PS3_,"axG",@progbits,_ZN9rocsparseL46csr2bsr_nnz_wavefront_per_row_multipass_kernelILj256ELj32ELj16EllEEvT3_S1_S1_S1_S1_21rocsparse_index_base_PKT2_PKS1_S2_PS3_,comdat
.Lfunc_end39:
	.size	_ZN9rocsparseL46csr2bsr_nnz_wavefront_per_row_multipass_kernelILj256ELj32ELj16EllEEvT3_S1_S1_S1_S1_21rocsparse_index_base_PKT2_PKS1_S2_PS3_, .Lfunc_end39-_ZN9rocsparseL46csr2bsr_nnz_wavefront_per_row_multipass_kernelILj256ELj32ELj16EllEEvT3_S1_S1_S1_S1_21rocsparse_index_base_PKT2_PKS1_S2_PS3_
                                        ; -- End function
	.set _ZN9rocsparseL46csr2bsr_nnz_wavefront_per_row_multipass_kernelILj256ELj32ELj16EllEEvT3_S1_S1_S1_S1_21rocsparse_index_base_PKT2_PKS1_S2_PS3_.num_vgpr, 42
	.set _ZN9rocsparseL46csr2bsr_nnz_wavefront_per_row_multipass_kernelILj256ELj32ELj16EllEEvT3_S1_S1_S1_S1_21rocsparse_index_base_PKT2_PKS1_S2_PS3_.num_agpr, 0
	.set _ZN9rocsparseL46csr2bsr_nnz_wavefront_per_row_multipass_kernelILj256ELj32ELj16EllEEvT3_S1_S1_S1_S1_21rocsparse_index_base_PKT2_PKS1_S2_PS3_.numbered_sgpr, 38
	.set _ZN9rocsparseL46csr2bsr_nnz_wavefront_per_row_multipass_kernelILj256ELj32ELj16EllEEvT3_S1_S1_S1_S1_21rocsparse_index_base_PKT2_PKS1_S2_PS3_.num_named_barrier, 0
	.set _ZN9rocsparseL46csr2bsr_nnz_wavefront_per_row_multipass_kernelILj256ELj32ELj16EllEEvT3_S1_S1_S1_S1_21rocsparse_index_base_PKT2_PKS1_S2_PS3_.private_seg_size, 0
	.set _ZN9rocsparseL46csr2bsr_nnz_wavefront_per_row_multipass_kernelILj256ELj32ELj16EllEEvT3_S1_S1_S1_S1_21rocsparse_index_base_PKT2_PKS1_S2_PS3_.uses_vcc, 1
	.set _ZN9rocsparseL46csr2bsr_nnz_wavefront_per_row_multipass_kernelILj256ELj32ELj16EllEEvT3_S1_S1_S1_S1_21rocsparse_index_base_PKT2_PKS1_S2_PS3_.uses_flat_scratch, 0
	.set _ZN9rocsparseL46csr2bsr_nnz_wavefront_per_row_multipass_kernelILj256ELj32ELj16EllEEvT3_S1_S1_S1_S1_21rocsparse_index_base_PKT2_PKS1_S2_PS3_.has_dyn_sized_stack, 0
	.set _ZN9rocsparseL46csr2bsr_nnz_wavefront_per_row_multipass_kernelILj256ELj32ELj16EllEEvT3_S1_S1_S1_S1_21rocsparse_index_base_PKT2_PKS1_S2_PS3_.has_recursion, 0
	.set _ZN9rocsparseL46csr2bsr_nnz_wavefront_per_row_multipass_kernelILj256ELj32ELj16EllEEvT3_S1_S1_S1_S1_21rocsparse_index_base_PKT2_PKS1_S2_PS3_.has_indirect_call, 0
	.section	.AMDGPU.csdata,"",@progbits
; Kernel info:
; codeLenInByte = 1880
; TotalNumSgprs: 40
; NumVgprs: 42
; ScratchSize: 0
; MemoryBound: 0
; FloatMode: 240
; IeeeMode: 1
; LDSByteSize: 72 bytes/workgroup (compile time only)
; SGPRBlocks: 0
; VGPRBlocks: 2
; NumSGPRsForWavesPerEU: 40
; NumVGPRsForWavesPerEU: 42
; NamedBarCnt: 0
; Occupancy: 16
; WaveLimiterHint : 0
; COMPUTE_PGM_RSRC2:SCRATCH_EN: 0
; COMPUTE_PGM_RSRC2:USER_SGPR: 2
; COMPUTE_PGM_RSRC2:TRAP_HANDLER: 0
; COMPUTE_PGM_RSRC2:TGID_X_EN: 1
; COMPUTE_PGM_RSRC2:TGID_Y_EN: 0
; COMPUTE_PGM_RSRC2:TGID_Z_EN: 0
; COMPUTE_PGM_RSRC2:TIDIG_COMP_CNT: 0
	.section	.text._ZN9rocsparseL42csr2bsr_nnz_block_per_row_multipass_kernelILj256ELj32EllEEvT2_S1_S1_S1_S1_21rocsparse_index_base_PKT1_PKS1_S2_PS3_,"axG",@progbits,_ZN9rocsparseL42csr2bsr_nnz_block_per_row_multipass_kernelILj256ELj32EllEEvT2_S1_S1_S1_S1_21rocsparse_index_base_PKT1_PKS1_S2_PS3_,comdat
	.globl	_ZN9rocsparseL42csr2bsr_nnz_block_per_row_multipass_kernelILj256ELj32EllEEvT2_S1_S1_S1_S1_21rocsparse_index_base_PKT1_PKS1_S2_PS3_ ; -- Begin function _ZN9rocsparseL42csr2bsr_nnz_block_per_row_multipass_kernelILj256ELj32EllEEvT2_S1_S1_S1_S1_21rocsparse_index_base_PKT1_PKS1_S2_PS3_
	.p2align	8
	.type	_ZN9rocsparseL42csr2bsr_nnz_block_per_row_multipass_kernelILj256ELj32EllEEvT2_S1_S1_S1_S1_21rocsparse_index_base_PKT1_PKS1_S2_PS3_,@function
_ZN9rocsparseL42csr2bsr_nnz_block_per_row_multipass_kernelILj256ELj32EllEEvT2_S1_S1_S1_S1_21rocsparse_index_base_PKT1_PKS1_S2_PS3_: ; @_ZN9rocsparseL42csr2bsr_nnz_block_per_row_multipass_kernelILj256ELj32EllEEvT2_S1_S1_S1_S1_21rocsparse_index_base_PKT1_PKS1_S2_PS3_
; %bb.0:
	s_clause 0x1
	s_load_b128 s[12:15], s[0:1], 0x18
	s_load_b64 s[2:3], s[0:1], 0x0
	s_bfe_u32 s5, ttmp6, 0x4000c
	s_and_b32 s4, ttmp6, 15
	s_add_co_i32 s5, s5, 1
	s_getreg_b32 s6, hwreg(HW_REG_IB_STS2, 6, 4)
	s_mul_i32 s5, ttmp9, s5
	v_dual_mov_b32 v7, 0 :: v_dual_lshrrev_b32 v6, 3, v0
	s_add_co_i32 s4, s4, s5
	s_cmp_eq_u32 s6, 0
	v_mov_b64_e32 v[2:3], 0
	s_cselect_b32 s16, ttmp9, s4
	s_clause 0x1
	s_load_b32 s18, s[0:1], 0x28
	s_load_b64 s[4:5], s[0:1], 0x30
	s_ashr_i32 s17, s16, 31
	v_mov_b64_e32 v[12:13], 0
	s_mov_b32 s19, 0
	ds_store_b64 v7, v[2:3] offset:2048
	s_wait_dscnt 0x0
	s_wait_kmcnt 0x0
	v_mad_nc_u64_u32 v[4:5], s14, s16, v[6:7]
	s_mul_i32 s6, s14, s17
	s_mul_i32 s7, s15, s16
	s_barrier_signal -1
	s_barrier_wait -1
	s_delay_alu instid0(VALU_DEP_1) | instskip(NEXT) | instid1(VALU_DEP_1)
	v_add3_u32 v5, s6, s7, v5
	v_cmp_gt_i64_e32 vcc_lo, s[2:3], v[4:5]
	v_cmp_gt_i64_e64 s2, s[14:15], v[6:7]
	s_and_b32 s2, s2, vcc_lo
	s_delay_alu instid0(SALU_CYCLE_1)
	s_and_saveexec_b32 s3, s2
	s_cbranch_execz .LBB40_2
; %bb.1:
	v_lshl_add_u64 v[6:7], v[4:5], 3, s[4:5]
	global_load_b64 v[6:7], v[6:7], off
	s_wait_loadcnt 0x0
	v_sub_nc_u64_e64 v[12:13], v[6:7], s[18:19]
.LBB40_2:
	s_or_b32 exec_lo, exec_lo, s3
	s_and_saveexec_b32 s3, s2
	s_cbranch_execz .LBB40_4
; %bb.3:
	v_lshl_add_u64 v[2:3], v[4:5], 3, s[4:5]
	global_load_b64 v[2:3], v[2:3], off offset:8
	s_wait_loadcnt 0x0
	v_sub_nc_u64_e64 v[2:3], v[2:3], s[18:19]
.LBB40_4:
	s_or_b32 exec_lo, exec_lo, s3
	v_cmp_lt_i64_e64 s2, s[12:13], 1
	s_and_b32 vcc_lo, exec_lo, s2
	v_cmp_eq_u32_e64 s2, 0, v0
	s_cbranch_vccnz .LBB40_37
; %bb.5:
	v_mbcnt_lo_u32_b32 v7, -1, 0
	s_load_b64 s[20:21], s[0:1], 0x38
	v_mov_b64_e32 v[10:11], 0
	v_dual_mov_b32 v26, 1 :: v_dual_lshlrev_b32 v25, 3, v0
	s_delay_alu instid0(VALU_DEP_3) | instskip(SKIP_3) | instid1(VALU_DEP_4)
	v_dual_mov_b32 v6, 0 :: v_dual_bitop2_b32 v1, 4, v7 bitop3:0x14
	v_xor_b32_e32 v8, 1, v7
	v_xor_b32_e32 v5, 2, v7
	v_lshl_or_b32 v24, v7, 2, 28
	v_cmp_gt_i32_e32 vcc_lo, 32, v1
	v_and_b32_e32 v4, 7, v0
	v_cmp_gt_u32_e64 s3, 0x80, v0
	v_cmp_gt_u32_e64 s4, 64, v0
	;; [unrolled: 1-line block ×3, first 2 shown]
	v_cndmask_b32_e32 v1, v7, v1, vcc_lo
	v_cmp_gt_i32_e32 vcc_lo, 32, v5
	v_cmp_gt_u32_e64 s6, 16, v0
	v_cmp_gt_u32_e64 s7, 8, v0
	;; [unrolled: 1-line block ×3, first 2 shown]
	v_lshlrev_b32_e32 v1, 2, v1
	v_cndmask_b32_e32 v9, v7, v5, vcc_lo
	v_cmp_gt_i32_e32 vcc_lo, 32, v8
	v_mov_b32_e32 v5, v6
	v_cmp_gt_u32_e64 s9, 2, v0
	s_mov_b32 s11, 0
	s_mov_b64 s[22:23], 0xffffffff
	v_dual_cndmask_b32 v8, v7, v8, vcc_lo :: v_dual_lshlrev_b32 v22, 2, v9
	s_mov_b32 s19, s11
	s_ashr_i32 s24, s15, 31
	s_sub_co_i32 s28, 0, s14
	s_delay_alu instid0(VALU_DEP_1)
	v_lshlrev_b32_e32 v23, 2, v8
	s_branch .LBB40_7
.LBB40_6:                               ;   in Loop: Header=BB40_7 Depth=1
	s_or_b32 exec_lo, exec_lo, s10
	s_wait_dscnt 0x0
	s_barrier_signal -1
	s_barrier_wait -1
	ds_load_b64 v[10:11], v6
	s_wait_dscnt 0x0
	s_barrier_signal -1
	s_barrier_wait -1
	v_cmp_gt_i64_e32 vcc_lo, s[12:13], v[10:11]
	s_cbranch_vccz .LBB40_37
.LBB40_7:                               ; =>This Loop Header: Depth=1
                                        ;     Child Loop BB40_10 Depth 2
	v_add_nc_u64_e32 v[12:13], v[12:13], v[4:5]
	v_mov_b64_e32 v[8:9], s[12:13]
	v_mov_b64_e32 v[18:19], v[2:3]
	s_mov_b32 s29, exec_lo
	ds_store_b8 v6, v6 offset:2056
	s_wait_dscnt 0x0
	s_barrier_signal -1
	s_barrier_wait -1
	v_cmpx_lt_i64_e64 v[12:13], v[2:3]
	s_cbranch_execz .LBB40_19
; %bb.8:                                ;   in Loop: Header=BB40_7 Depth=1
	v_mov_b64_e32 v[8:9], s[12:13]
	v_mov_b64_e32 v[16:17], v[2:3]
	s_wait_kmcnt 0x0
	v_lshl_add_u64 v[14:15], v[12:13], 3, s[20:21]
	s_mov_b32 s30, 0
	s_branch .LBB40_10
.LBB40_9:                               ;   in Loop: Header=BB40_10 Depth=2
	s_or_b32 exec_lo, exec_lo, s10
	v_add_nc_u64_e32 v[12:13], 8, v[12:13]
	s_xor_b32 s25, vcc_lo, -1
	v_add_nc_u64_e32 v[14:15], 64, v[14:15]
	v_mov_b64_e32 v[16:17], v[18:19]
	s_delay_alu instid0(VALU_DEP_3) | instskip(SKIP_1) | instid1(SALU_CYCLE_1)
	v_cmp_ge_i64_e64 s10, v[12:13], v[2:3]
	s_or_b32 s10, s25, s10
	s_and_b32 s10, exec_lo, s10
	s_delay_alu instid0(SALU_CYCLE_1) | instskip(NEXT) | instid1(SALU_CYCLE_1)
	s_or_b32 s30, s10, s30
	s_and_not1_b32 exec_lo, exec_lo, s30
	s_cbranch_execz .LBB40_18
.LBB40_10:                              ;   Parent Loop BB40_7 Depth=1
                                        ; =>  This Inner Loop Header: Depth=2
	global_load_b64 v[18:19], v[14:15], off
                                        ; implicit-def: $vgpr20_vgpr21
	s_mov_b32 s10, exec_lo
	s_wait_loadcnt 0x0
	v_sub_nc_u64_e64 v[18:19], v[18:19], s[18:19]
	s_delay_alu instid0(VALU_DEP_1) | instskip(SKIP_1) | instid1(VALU_DEP_1)
	v_or_b32_e32 v7, s15, v19
	s_wait_xcnt 0x0
	v_cmpx_ne_u64_e32 0, v[6:7]
	s_xor_b32 s31, exec_lo, s10
	s_cbranch_execz .LBB40_12
; %bb.11:                               ;   in Loop: Header=BB40_10 Depth=2
	s_mov_b32 s25, s24
	v_dual_mov_b32 v29, v6 :: v_dual_ashrrev_i32 v20, 31, v19
	s_add_nc_u64 s[26:27], s[14:15], s[24:25]
	s_delay_alu instid0(SALU_CYCLE_1) | instskip(NEXT) | instid1(VALU_DEP_1)
	s_xor_b64 s[26:27], s[26:27], s[24:25]
	v_mov_b32_e32 v21, v20
	s_cvt_f32_u32 s10, s26
	s_cvt_f32_u32 s25, s27
	s_sub_nc_u64 s[36:37], 0, s[26:27]
	s_delay_alu instid0(VALU_DEP_1) | instskip(NEXT) | instid1(SALU_CYCLE_1)
	v_add_nc_u64_e32 v[18:19], v[18:19], v[20:21]
	s_fmamk_f32 s10, s25, 0x4f800000, s10
	v_mov_b32_e32 v33, v6
	s_delay_alu instid0(SALU_CYCLE_2) | instskip(NEXT) | instid1(VALU_DEP_2)
	v_s_rcp_f32 s10, s10
	v_xor_b32_e32 v28, v18, v20
	s_delay_alu instid0(VALU_DEP_3) | instskip(NEXT) | instid1(TRANS32_DEP_1)
	v_dual_mov_b32 v37, v6 :: v_dual_bitop2_b32 v32, v19, v20 bitop3:0x14
	s_mul_f32 s10, s10, 0x5f7ffffc
	s_delay_alu instid0(SALU_CYCLE_3) | instskip(NEXT) | instid1(SALU_CYCLE_3)
	s_mul_f32 s25, s10, 0x2f800000
	s_trunc_f32 s25, s25
	s_delay_alu instid0(SALU_CYCLE_3) | instskip(SKIP_1) | instid1(SALU_CYCLE_2)
	s_fmamk_f32 s10, s25, 0xcf800000, s10
	s_cvt_u32_f32 s35, s25
	s_cvt_u32_f32 s34, s10
	s_delay_alu instid0(SALU_CYCLE_3) | instskip(NEXT) | instid1(SALU_CYCLE_1)
	s_mul_u64 s[38:39], s[36:37], s[34:35]
	s_mul_hi_u32 s41, s34, s39
	s_mul_i32 s40, s34, s39
	s_mul_hi_u32 s10, s34, s38
	s_mul_i32 s33, s35, s38
	s_add_nc_u64 s[40:41], s[10:11], s[40:41]
	s_mul_hi_u32 s25, s35, s38
	s_mul_hi_u32 s42, s35, s39
	s_add_co_u32 s10, s40, s33
	s_add_co_ci_u32 s10, s41, s25
	s_mul_i32 s38, s35, s39
	s_add_co_ci_u32 s39, s42, 0
	s_delay_alu instid0(SALU_CYCLE_1) | instskip(NEXT) | instid1(SALU_CYCLE_1)
	s_add_nc_u64 s[38:39], s[10:11], s[38:39]
	s_add_co_u32 s34, s34, s38
	s_cselect_b32 s10, -1, 0
	s_delay_alu instid0(SALU_CYCLE_1) | instskip(SKIP_1) | instid1(SALU_CYCLE_1)
	s_cmp_lg_u32 s10, 0
	s_add_co_ci_u32 s35, s35, s39
	s_mul_u64 s[36:37], s[36:37], s[34:35]
	s_delay_alu instid0(SALU_CYCLE_1)
	s_mul_hi_u32 s39, s34, s37
	s_mul_i32 s38, s34, s37
	s_mul_hi_u32 s10, s34, s36
	s_mul_i32 s33, s35, s36
	s_add_nc_u64 s[38:39], s[10:11], s[38:39]
	s_mul_hi_u32 s25, s35, s36
	s_mul_hi_u32 s40, s35, s37
	s_add_co_u32 s10, s38, s33
	s_add_co_ci_u32 s10, s39, s25
	s_mul_i32 s36, s35, s37
	s_add_co_ci_u32 s37, s40, 0
	s_delay_alu instid0(SALU_CYCLE_1) | instskip(NEXT) | instid1(SALU_CYCLE_1)
	s_add_nc_u64 s[36:37], s[10:11], s[36:37]
	s_add_co_u32 s34, s34, s36
	s_cselect_b32 s10, -1, 0
	v_mul_hi_u32 v36, v28, s34
	s_cmp_lg_u32 s10, 0
	s_add_co_ci_u32 s10, s35, s37
	s_and_b64 s[36:37], s[34:35], s[22:23]
	v_mul_u64_e32 v[30:31], s[10:11], v[28:29]
	v_mul_u64_e32 v[18:19], s[36:37], v[32:33]
	;; [unrolled: 1-line block ×3, first 2 shown]
	s_delay_alu instid0(VALU_DEP_3) | instskip(NEXT) | instid1(VALU_DEP_1)
	v_add_nc_u64_e32 v[30:31], v[36:37], v[30:31]
	v_add_co_u32 v7, vcc_lo, v30, v18
	s_delay_alu instid0(VALU_DEP_2) | instskip(NEXT) | instid1(VALU_DEP_4)
	v_add_co_ci_u32_e32 v36, vcc_lo, v31, v19, vcc_lo
	v_add_co_ci_u32_e32 v35, vcc_lo, 0, v35, vcc_lo
	s_delay_alu instid0(VALU_DEP_1) | instskip(NEXT) | instid1(VALU_DEP_1)
	v_add_nc_u64_e32 v[18:19], v[36:37], v[34:35]
	v_mul_u64_e32 v[30:31], s[26:27], v[18:19]
	s_delay_alu instid0(VALU_DEP_1) | instskip(NEXT) | instid1(VALU_DEP_2)
	v_sub_nc_u32_e32 v7, v32, v31
	v_sub_co_u32 v21, vcc_lo, v28, v30
	s_delay_alu instid0(VALU_DEP_1) | instskip(NEXT) | instid1(VALU_DEP_3)
	v_sub_co_ci_u32_e64 v32, null, v32, v31, vcc_lo
	v_subrev_co_ci_u32_e64 v7, null, s27, v7, vcc_lo
	s_delay_alu instid0(VALU_DEP_3) | instskip(SKIP_1) | instid1(VALU_DEP_3)
	v_sub_co_u32 v27, s10, v21, s26
	v_add_nc_u64_e32 v[30:31], 1, v[18:19]
	v_subrev_co_ci_u32_e64 v7, null, 0, v7, s10
	s_delay_alu instid0(VALU_DEP_3) | instskip(SKIP_1) | instid1(VALU_DEP_3)
	v_cmp_le_u32_e32 vcc_lo, s26, v27
	v_cndmask_b32_e64 v27, 0, -1, vcc_lo
	v_cmp_le_u32_e32 vcc_lo, s27, v7
	v_cndmask_b32_e64 v28, 0, -1, vcc_lo
	;; [unrolled: 2-line block ×4, first 2 shown]
	v_cmp_eq_u32_e32 vcc_lo, s27, v7
	v_cndmask_b32_e32 v7, v28, v27, vcc_lo
	v_cmp_eq_u32_e32 vcc_lo, s27, v32
	v_add_nc_u64_e32 v[28:29], 2, v[18:19]
	v_cndmask_b32_e32 v21, v33, v21, vcc_lo
	s_delay_alu instid0(VALU_DEP_4) | instskip(NEXT) | instid1(VALU_DEP_2)
	v_cmp_ne_u32_e32 vcc_lo, 0, v7
	v_cmp_ne_u32_e64 s10, 0, v21
	s_delay_alu instid0(VALU_DEP_4) | instskip(NEXT) | instid1(VALU_DEP_1)
	v_dual_cndmask_b32 v7, v31, v29, vcc_lo :: v_dual_cndmask_b32 v21, v30, v28, vcc_lo
	v_dual_cndmask_b32 v7, v19, v7, s10 :: v_dual_bitop2_b32 v20, s24, v20 bitop3:0x14
	s_delay_alu instid0(VALU_DEP_1) | instskip(NEXT) | instid1(VALU_DEP_2)
	v_dual_cndmask_b32 v18, v18, v21, s10 :: v_dual_mov_b32 v21, v20
	v_xor_b32_e32 v19, v7, v20
	s_delay_alu instid0(VALU_DEP_2) | instskip(NEXT) | instid1(VALU_DEP_1)
	v_xor_b32_e32 v18, v18, v20
	v_sub_nc_u64_e32 v[20:21], v[18:19], v[20:21]
                                        ; implicit-def: $vgpr18_vgpr19
.LBB40_12:                              ;   in Loop: Header=BB40_10 Depth=2
	s_and_not1_saveexec_b32 s10, s31
	s_cbranch_execz .LBB40_14
; %bb.13:                               ;   in Loop: Header=BB40_10 Depth=2
	v_cvt_f32_u32_e32 v7, s14
	v_mov_b32_e32 v21, v6
	s_delay_alu instid0(VALU_DEP_2) | instskip(SKIP_1) | instid1(TRANS32_DEP_1)
	v_rcp_iflag_f32_e32 v7, v7
	v_nop
	v_mul_f32_e32 v7, 0x4f7ffffe, v7
	s_delay_alu instid0(VALU_DEP_1) | instskip(NEXT) | instid1(VALU_DEP_1)
	v_cvt_u32_f32_e32 v7, v7
	v_mul_lo_u32 v19, s28, v7
	s_delay_alu instid0(VALU_DEP_1) | instskip(NEXT) | instid1(VALU_DEP_1)
	v_mul_hi_u32 v19, v7, v19
	v_add_nc_u32_e32 v7, v7, v19
	s_delay_alu instid0(VALU_DEP_1) | instskip(NEXT) | instid1(VALU_DEP_1)
	v_mul_hi_u32 v7, v18, v7
	v_mul_lo_u32 v19, v7, s14
	s_delay_alu instid0(VALU_DEP_1) | instskip(SKIP_1) | instid1(VALU_DEP_2)
	v_sub_nc_u32_e32 v18, v18, v19
	v_add_nc_u32_e32 v19, 1, v7
	v_subrev_nc_u32_e32 v20, s14, v18
	v_cmp_le_u32_e32 vcc_lo, s14, v18
	s_delay_alu instid0(VALU_DEP_2) | instskip(NEXT) | instid1(VALU_DEP_1)
	v_dual_cndmask_b32 v18, v18, v20 :: v_dual_cndmask_b32 v7, v7, v19
	v_cmp_le_u32_e32 vcc_lo, s14, v18
	s_delay_alu instid0(VALU_DEP_2) | instskip(NEXT) | instid1(VALU_DEP_1)
	v_add_nc_u32_e32 v19, 1, v7
	v_cndmask_b32_e32 v20, v7, v19, vcc_lo
.LBB40_14:                              ;   in Loop: Header=BB40_10 Depth=2
	s_or_b32 exec_lo, exec_lo, s10
	s_delay_alu instid0(VALU_DEP_1) | instskip(SKIP_2) | instid1(SALU_CYCLE_1)
	v_cmp_ne_u64_e64 s10, v[20:21], v[10:11]
	v_cmp_eq_u64_e32 vcc_lo, v[20:21], v[10:11]
	s_and_saveexec_b32 s25, s10
	s_xor_b32 s10, exec_lo, s25
; %bb.15:                               ;   in Loop: Header=BB40_10 Depth=2
	v_min_i64 v[8:9], v[20:21], v[8:9]
                                        ; implicit-def: $vgpr16_vgpr17
; %bb.16:                               ;   in Loop: Header=BB40_10 Depth=2
	s_or_saveexec_b32 s10, s10
	v_mov_b64_e32 v[18:19], v[12:13]
	s_xor_b32 exec_lo, exec_lo, s10
	s_cbranch_execz .LBB40_9
; %bb.17:                               ;   in Loop: Header=BB40_10 Depth=2
	v_mov_b64_e32 v[18:19], v[16:17]
	ds_store_b8 v6, v26 offset:2056
	s_branch .LBB40_9
.LBB40_18:                              ;   in Loop: Header=BB40_7 Depth=1
	s_or_b32 exec_lo, exec_lo, s30
.LBB40_19:                              ;   in Loop: Header=BB40_7 Depth=1
	s_delay_alu instid0(SALU_CYCLE_1)
	s_or_b32 exec_lo, exec_lo, s29
	ds_bpermute_b32 v10, v1, v18
	ds_bpermute_b32 v11, v1, v19
	s_wait_dscnt 0x0
	s_barrier_signal -1
	s_barrier_wait -1
	ds_load_u8 v7, v6 offset:2056
	v_min_i64 v[10:11], v[10:11], v[18:19]
	s_wait_dscnt 0x0
	v_readfirstlane_b32 s10, v7
	s_bitcmp1_b32 s10, 0
	s_cselect_b32 s10, -1, 0
	s_delay_alu instid0(SALU_CYCLE_1)
	s_and_b32 s25, s2, s10
	ds_bpermute_b32 v12, v22, v10
	ds_bpermute_b32 v13, v22, v11
	s_wait_dscnt 0x0
	v_min_i64 v[10:11], v[12:13], v[10:11]
	ds_bpermute_b32 v12, v23, v10
	ds_bpermute_b32 v13, v23, v11
	s_wait_dscnt 0x0
	v_min_i64 v[10:11], v[12:13], v[10:11]
	ds_bpermute_b32 v12, v24, v10
	ds_bpermute_b32 v13, v24, v11
	s_and_saveexec_b32 s10, s25
	s_cbranch_execz .LBB40_21
; %bb.20:                               ;   in Loop: Header=BB40_7 Depth=1
	ds_load_b64 v[10:11], v6 offset:2048
	s_wait_dscnt 0x0
	v_add_nc_u64_e32 v[10:11], 1, v[10:11]
	ds_store_b64 v6, v[10:11] offset:2048
.LBB40_21:                              ;   in Loop: Header=BB40_7 Depth=1
	s_or_b32 exec_lo, exec_lo, s10
	ds_store_b64 v25, v[8:9]
	s_wait_dscnt 0x0
	s_barrier_signal -1
	s_barrier_wait -1
	s_and_saveexec_b32 s10, s3
	s_cbranch_execz .LBB40_23
; %bb.22:                               ;   in Loop: Header=BB40_7 Depth=1
	ds_load_2addr_stride64_b64 v[8:11], v25 offset1:2
	s_wait_dscnt 0x0
	v_min_i64 v[8:9], v[10:11], v[8:9]
	ds_store_b64 v25, v[8:9]
.LBB40_23:                              ;   in Loop: Header=BB40_7 Depth=1
	s_or_b32 exec_lo, exec_lo, s10
	s_wait_dscnt 0x0
	s_barrier_signal -1
	s_barrier_wait -1
	s_and_saveexec_b32 s10, s4
	s_cbranch_execz .LBB40_25
; %bb.24:                               ;   in Loop: Header=BB40_7 Depth=1
	ds_load_2addr_stride64_b64 v[8:11], v25 offset1:1
	s_wait_dscnt 0x0
	v_min_i64 v[8:9], v[10:11], v[8:9]
	ds_store_b64 v25, v[8:9]
.LBB40_25:                              ;   in Loop: Header=BB40_7 Depth=1
	s_or_b32 exec_lo, exec_lo, s10
	s_wait_dscnt 0x0
	s_barrier_signal -1
	s_barrier_wait -1
	s_and_saveexec_b32 s10, s5
	s_cbranch_execz .LBB40_27
; %bb.26:                               ;   in Loop: Header=BB40_7 Depth=1
	ds_load_2addr_b64 v[8:11], v25 offset1:32
	s_wait_dscnt 0x0
	v_min_i64 v[8:9], v[10:11], v[8:9]
	ds_store_b64 v25, v[8:9]
.LBB40_27:                              ;   in Loop: Header=BB40_7 Depth=1
	s_or_b32 exec_lo, exec_lo, s10
	s_wait_dscnt 0x0
	s_barrier_signal -1
	s_barrier_wait -1
	s_and_saveexec_b32 s10, s6
	s_cbranch_execz .LBB40_29
; %bb.28:                               ;   in Loop: Header=BB40_7 Depth=1
	ds_load_2addr_b64 v[8:11], v25 offset1:16
	s_wait_dscnt 0x0
	v_min_i64 v[8:9], v[10:11], v[8:9]
	ds_store_b64 v25, v[8:9]
.LBB40_29:                              ;   in Loop: Header=BB40_7 Depth=1
	s_or_b32 exec_lo, exec_lo, s10
	s_wait_dscnt 0x0
	s_barrier_signal -1
	s_barrier_wait -1
	s_and_saveexec_b32 s10, s7
	s_cbranch_execz .LBB40_31
; %bb.30:                               ;   in Loop: Header=BB40_7 Depth=1
	ds_load_2addr_b64 v[8:11], v25 offset1:8
	s_wait_dscnt 0x0
	v_min_i64 v[8:9], v[10:11], v[8:9]
	ds_store_b64 v25, v[8:9]
.LBB40_31:                              ;   in Loop: Header=BB40_7 Depth=1
	s_or_b32 exec_lo, exec_lo, s10
	s_wait_dscnt 0x0
	s_barrier_signal -1
	s_barrier_wait -1
	s_and_saveexec_b32 s10, s8
	s_cbranch_execz .LBB40_33
; %bb.32:                               ;   in Loop: Header=BB40_7 Depth=1
	ds_load_2addr_b64 v[8:11], v25 offset1:4
	s_wait_dscnt 0x0
	v_min_i64 v[8:9], v[10:11], v[8:9]
	ds_store_b64 v25, v[8:9]
.LBB40_33:                              ;   in Loop: Header=BB40_7 Depth=1
	s_or_b32 exec_lo, exec_lo, s10
	s_wait_dscnt 0x0
	s_barrier_signal -1
	s_barrier_wait -1
	s_and_saveexec_b32 s10, s9
	s_cbranch_execz .LBB40_35
; %bb.34:                               ;   in Loop: Header=BB40_7 Depth=1
	ds_load_2addr_b64 v[8:11], v25 offset1:2
	s_wait_dscnt 0x0
	v_min_i64 v[8:9], v[10:11], v[8:9]
	ds_store_b64 v25, v[8:9]
.LBB40_35:                              ;   in Loop: Header=BB40_7 Depth=1
	s_or_b32 exec_lo, exec_lo, s10
	s_wait_dscnt 0x0
	s_barrier_signal -1
	s_barrier_wait -1
	s_and_saveexec_b32 s10, s2
	s_cbranch_execz .LBB40_6
; %bb.36:                               ;   in Loop: Header=BB40_7 Depth=1
	ds_load_b128 v[8:11], v6
	s_wait_dscnt 0x0
	v_min_i64 v[8:9], v[10:11], v[8:9]
	ds_store_b64 v6, v[8:9]
	s_branch .LBB40_6
.LBB40_37:
	s_mov_b32 s2, exec_lo
	v_cmpx_eq_u32_e32 0, v0
	s_cbranch_execz .LBB40_39
; %bb.38:
	s_load_b32 s2, s[0:1], 0x40
	v_mov_b32_e32 v1, 0
	s_wait_xcnt 0x0
	s_load_b64 s[0:1], s[0:1], 0x48
	s_wait_kmcnt 0x0
	v_mov_b32_e32 v0, s2
	ds_load_b64 v[2:3], v1 offset:2048
	s_lshl_b64 s[2:3], s[16:17], 3
	s_delay_alu instid0(SALU_CYCLE_1)
	s_add_nc_u64 s[2:3], s[0:1], s[2:3]
	global_store_b64 v1, v[0:1], s[0:1]
	s_wait_dscnt 0x0
	global_store_b64 v1, v[2:3], s[2:3] offset:8
.LBB40_39:
	s_endpgm
	.section	.rodata,"a",@progbits
	.p2align	6, 0x0
	.amdhsa_kernel _ZN9rocsparseL42csr2bsr_nnz_block_per_row_multipass_kernelILj256ELj32EllEEvT2_S1_S1_S1_S1_21rocsparse_index_base_PKT1_PKS1_S2_PS3_
		.amdhsa_group_segment_fixed_size 2064
		.amdhsa_private_segment_fixed_size 0
		.amdhsa_kernarg_size 80
		.amdhsa_user_sgpr_count 2
		.amdhsa_user_sgpr_dispatch_ptr 0
		.amdhsa_user_sgpr_queue_ptr 0
		.amdhsa_user_sgpr_kernarg_segment_ptr 1
		.amdhsa_user_sgpr_dispatch_id 0
		.amdhsa_user_sgpr_kernarg_preload_length 0
		.amdhsa_user_sgpr_kernarg_preload_offset 0
		.amdhsa_user_sgpr_private_segment_size 0
		.amdhsa_wavefront_size32 1
		.amdhsa_uses_dynamic_stack 0
		.amdhsa_enable_private_segment 0
		.amdhsa_system_sgpr_workgroup_id_x 1
		.amdhsa_system_sgpr_workgroup_id_y 0
		.amdhsa_system_sgpr_workgroup_id_z 0
		.amdhsa_system_sgpr_workgroup_info 0
		.amdhsa_system_vgpr_workitem_id 0
		.amdhsa_next_free_vgpr 38
		.amdhsa_next_free_sgpr 43
		.amdhsa_named_barrier_count 0
		.amdhsa_reserve_vcc 1
		.amdhsa_float_round_mode_32 0
		.amdhsa_float_round_mode_16_64 0
		.amdhsa_float_denorm_mode_32 3
		.amdhsa_float_denorm_mode_16_64 3
		.amdhsa_fp16_overflow 0
		.amdhsa_memory_ordered 1
		.amdhsa_forward_progress 1
		.amdhsa_inst_pref_size 18
		.amdhsa_round_robin_scheduling 0
		.amdhsa_exception_fp_ieee_invalid_op 0
		.amdhsa_exception_fp_denorm_src 0
		.amdhsa_exception_fp_ieee_div_zero 0
		.amdhsa_exception_fp_ieee_overflow 0
		.amdhsa_exception_fp_ieee_underflow 0
		.amdhsa_exception_fp_ieee_inexact 0
		.amdhsa_exception_int_div_zero 0
	.end_amdhsa_kernel
	.section	.text._ZN9rocsparseL42csr2bsr_nnz_block_per_row_multipass_kernelILj256ELj32EllEEvT2_S1_S1_S1_S1_21rocsparse_index_base_PKT1_PKS1_S2_PS3_,"axG",@progbits,_ZN9rocsparseL42csr2bsr_nnz_block_per_row_multipass_kernelILj256ELj32EllEEvT2_S1_S1_S1_S1_21rocsparse_index_base_PKT1_PKS1_S2_PS3_,comdat
.Lfunc_end40:
	.size	_ZN9rocsparseL42csr2bsr_nnz_block_per_row_multipass_kernelILj256ELj32EllEEvT2_S1_S1_S1_S1_21rocsparse_index_base_PKT1_PKS1_S2_PS3_, .Lfunc_end40-_ZN9rocsparseL42csr2bsr_nnz_block_per_row_multipass_kernelILj256ELj32EllEEvT2_S1_S1_S1_S1_21rocsparse_index_base_PKT1_PKS1_S2_PS3_
                                        ; -- End function
	.set _ZN9rocsparseL42csr2bsr_nnz_block_per_row_multipass_kernelILj256ELj32EllEEvT2_S1_S1_S1_S1_21rocsparse_index_base_PKT1_PKS1_S2_PS3_.num_vgpr, 38
	.set _ZN9rocsparseL42csr2bsr_nnz_block_per_row_multipass_kernelILj256ELj32EllEEvT2_S1_S1_S1_S1_21rocsparse_index_base_PKT1_PKS1_S2_PS3_.num_agpr, 0
	.set _ZN9rocsparseL42csr2bsr_nnz_block_per_row_multipass_kernelILj256ELj32EllEEvT2_S1_S1_S1_S1_21rocsparse_index_base_PKT1_PKS1_S2_PS3_.numbered_sgpr, 43
	.set _ZN9rocsparseL42csr2bsr_nnz_block_per_row_multipass_kernelILj256ELj32EllEEvT2_S1_S1_S1_S1_21rocsparse_index_base_PKT1_PKS1_S2_PS3_.num_named_barrier, 0
	.set _ZN9rocsparseL42csr2bsr_nnz_block_per_row_multipass_kernelILj256ELj32EllEEvT2_S1_S1_S1_S1_21rocsparse_index_base_PKT1_PKS1_S2_PS3_.private_seg_size, 0
	.set _ZN9rocsparseL42csr2bsr_nnz_block_per_row_multipass_kernelILj256ELj32EllEEvT2_S1_S1_S1_S1_21rocsparse_index_base_PKT1_PKS1_S2_PS3_.uses_vcc, 1
	.set _ZN9rocsparseL42csr2bsr_nnz_block_per_row_multipass_kernelILj256ELj32EllEEvT2_S1_S1_S1_S1_21rocsparse_index_base_PKT1_PKS1_S2_PS3_.uses_flat_scratch, 0
	.set _ZN9rocsparseL42csr2bsr_nnz_block_per_row_multipass_kernelILj256ELj32EllEEvT2_S1_S1_S1_S1_21rocsparse_index_base_PKT1_PKS1_S2_PS3_.has_dyn_sized_stack, 0
	.set _ZN9rocsparseL42csr2bsr_nnz_block_per_row_multipass_kernelILj256ELj32EllEEvT2_S1_S1_S1_S1_21rocsparse_index_base_PKT1_PKS1_S2_PS3_.has_recursion, 0
	.set _ZN9rocsparseL42csr2bsr_nnz_block_per_row_multipass_kernelILj256ELj32EllEEvT2_S1_S1_S1_S1_21rocsparse_index_base_PKT1_PKS1_S2_PS3_.has_indirect_call, 0
	.section	.AMDGPU.csdata,"",@progbits
; Kernel info:
; codeLenInByte = 2188
; TotalNumSgprs: 45
; NumVgprs: 38
; ScratchSize: 0
; MemoryBound: 0
; FloatMode: 240
; IeeeMode: 1
; LDSByteSize: 2064 bytes/workgroup (compile time only)
; SGPRBlocks: 0
; VGPRBlocks: 2
; NumSGPRsForWavesPerEU: 45
; NumVGPRsForWavesPerEU: 38
; NamedBarCnt: 0
; Occupancy: 16
; WaveLimiterHint : 0
; COMPUTE_PGM_RSRC2:SCRATCH_EN: 0
; COMPUTE_PGM_RSRC2:USER_SGPR: 2
; COMPUTE_PGM_RSRC2:TRAP_HANDLER: 0
; COMPUTE_PGM_RSRC2:TGID_X_EN: 1
; COMPUTE_PGM_RSRC2:TGID_Y_EN: 0
; COMPUTE_PGM_RSRC2:TGID_Z_EN: 0
; COMPUTE_PGM_RSRC2:TIDIG_COMP_CNT: 0
	.section	.text._ZN9rocsparseL42csr2bsr_nnz_block_per_row_multipass_kernelILj256ELj64EllEEvT2_S1_S1_S1_S1_21rocsparse_index_base_PKT1_PKS1_S2_PS3_,"axG",@progbits,_ZN9rocsparseL42csr2bsr_nnz_block_per_row_multipass_kernelILj256ELj64EllEEvT2_S1_S1_S1_S1_21rocsparse_index_base_PKT1_PKS1_S2_PS3_,comdat
	.globl	_ZN9rocsparseL42csr2bsr_nnz_block_per_row_multipass_kernelILj256ELj64EllEEvT2_S1_S1_S1_S1_21rocsparse_index_base_PKT1_PKS1_S2_PS3_ ; -- Begin function _ZN9rocsparseL42csr2bsr_nnz_block_per_row_multipass_kernelILj256ELj64EllEEvT2_S1_S1_S1_S1_21rocsparse_index_base_PKT1_PKS1_S2_PS3_
	.p2align	8
	.type	_ZN9rocsparseL42csr2bsr_nnz_block_per_row_multipass_kernelILj256ELj64EllEEvT2_S1_S1_S1_S1_21rocsparse_index_base_PKT1_PKS1_S2_PS3_,@function
_ZN9rocsparseL42csr2bsr_nnz_block_per_row_multipass_kernelILj256ELj64EllEEvT2_S1_S1_S1_S1_21rocsparse_index_base_PKT1_PKS1_S2_PS3_: ; @_ZN9rocsparseL42csr2bsr_nnz_block_per_row_multipass_kernelILj256ELj64EllEEvT2_S1_S1_S1_S1_21rocsparse_index_base_PKT1_PKS1_S2_PS3_
; %bb.0:
	s_clause 0x1
	s_load_b128 s[12:15], s[0:1], 0x18
	s_load_b64 s[2:3], s[0:1], 0x0
	s_bfe_u32 s5, ttmp6, 0x4000c
	s_and_b32 s4, ttmp6, 15
	s_add_co_i32 s5, s5, 1
	s_getreg_b32 s6, hwreg(HW_REG_IB_STS2, 6, 4)
	s_mul_i32 s5, ttmp9, s5
	v_dual_mov_b32 v7, 0 :: v_dual_lshrrev_b32 v6, 2, v0
	s_add_co_i32 s4, s4, s5
	s_cmp_eq_u32 s6, 0
	v_mov_b64_e32 v[2:3], 0
	s_cselect_b32 s16, ttmp9, s4
	s_clause 0x1
	s_load_b32 s18, s[0:1], 0x28
	s_load_b64 s[4:5], s[0:1], 0x30
	s_ashr_i32 s17, s16, 31
	v_mov_b64_e32 v[12:13], 0
	s_mov_b32 s19, 0
	ds_store_b64 v7, v[2:3] offset:2048
	s_wait_dscnt 0x0
	s_wait_kmcnt 0x0
	v_mad_nc_u64_u32 v[4:5], s14, s16, v[6:7]
	s_mul_i32 s6, s14, s17
	s_mul_i32 s7, s15, s16
	s_barrier_signal -1
	s_barrier_wait -1
	s_delay_alu instid0(VALU_DEP_1) | instskip(NEXT) | instid1(VALU_DEP_1)
	v_add3_u32 v5, s6, s7, v5
	v_cmp_gt_i64_e32 vcc_lo, s[2:3], v[4:5]
	v_cmp_gt_i64_e64 s2, s[14:15], v[6:7]
	s_and_b32 s2, s2, vcc_lo
	s_delay_alu instid0(SALU_CYCLE_1)
	s_and_saveexec_b32 s3, s2
	s_cbranch_execz .LBB41_2
; %bb.1:
	v_lshl_add_u64 v[6:7], v[4:5], 3, s[4:5]
	global_load_b64 v[6:7], v[6:7], off
	s_wait_loadcnt 0x0
	v_sub_nc_u64_e64 v[12:13], v[6:7], s[18:19]
.LBB41_2:
	s_or_b32 exec_lo, exec_lo, s3
	s_and_saveexec_b32 s3, s2
	s_cbranch_execz .LBB41_4
; %bb.3:
	v_lshl_add_u64 v[2:3], v[4:5], 3, s[4:5]
	global_load_b64 v[2:3], v[2:3], off offset:8
	s_wait_loadcnt 0x0
	v_sub_nc_u64_e64 v[2:3], v[2:3], s[18:19]
.LBB41_4:
	s_or_b32 exec_lo, exec_lo, s3
	v_cmp_lt_i64_e64 s2, s[12:13], 1
	s_and_b32 vcc_lo, exec_lo, s2
	v_cmp_eq_u32_e64 s2, 0, v0
	s_cbranch_vccnz .LBB41_37
; %bb.5:
	v_mbcnt_lo_u32_b32 v7, -1, 0
	s_load_b64 s[20:21], s[0:1], 0x38
	v_mov_b64_e32 v[10:11], 0
	v_cmp_gt_u32_e64 s3, 0x80, v0
	v_cmp_gt_u32_e64 s4, 64, v0
	v_dual_mov_b32 v6, 0 :: v_dual_bitop2_b32 v1, 2, v7 bitop3:0x14
	v_xor_b32_e32 v5, 1, v7
	v_lshl_or_b32 v22, v7, 2, 12
	v_cmp_gt_u32_e64 s5, 32, v0
	s_delay_alu instid0(VALU_DEP_4)
	v_cmp_gt_i32_e32 vcc_lo, 32, v1
	v_and_b32_e32 v4, 3, v0
	v_cmp_gt_u32_e64 s6, 16, v0
	v_cmp_gt_u32_e64 s7, 8, v0
	;; [unrolled: 1-line block ×3, first 2 shown]
	v_dual_cndmask_b32 v8, v7, v1 :: v_dual_lshlrev_b32 v1, 3, v0
	v_cmp_gt_i32_e32 vcc_lo, 32, v5
	v_cmp_gt_u32_e64 s9, 2, v0
	v_mov_b32_e32 v25, 1
	s_mov_b32 s11, 0
	s_mov_b64 s[22:23], 0xffffffff
	v_dual_cndmask_b32 v9, v7, v5, vcc_lo :: v_dual_mov_b32 v5, v6
	v_lshlrev_b32_e32 v23, 2, v8
	s_mov_b32 s19, s11
	s_ashr_i32 s24, s15, 31
	s_delay_alu instid0(VALU_DEP_2)
	v_lshlrev_b32_e32 v24, 2, v9
	s_sub_co_i32 s28, 0, s14
	s_branch .LBB41_7
.LBB41_6:                               ;   in Loop: Header=BB41_7 Depth=1
	s_or_b32 exec_lo, exec_lo, s10
	s_wait_dscnt 0x0
	s_barrier_signal -1
	s_barrier_wait -1
	ds_load_b64 v[10:11], v6
	s_wait_dscnt 0x0
	s_barrier_signal -1
	s_barrier_wait -1
	v_cmp_gt_i64_e32 vcc_lo, s[12:13], v[10:11]
	s_cbranch_vccz .LBB41_37
.LBB41_7:                               ; =>This Loop Header: Depth=1
                                        ;     Child Loop BB41_10 Depth 2
	v_add_nc_u64_e32 v[12:13], v[12:13], v[4:5]
	v_mov_b64_e32 v[8:9], s[12:13]
	v_mov_b64_e32 v[18:19], v[2:3]
	s_mov_b32 s29, exec_lo
	ds_store_b8 v6, v6 offset:2056
	s_wait_dscnt 0x0
	s_barrier_signal -1
	s_barrier_wait -1
	v_cmpx_lt_i64_e64 v[12:13], v[2:3]
	s_cbranch_execz .LBB41_19
; %bb.8:                                ;   in Loop: Header=BB41_7 Depth=1
	v_mov_b64_e32 v[8:9], s[12:13]
	v_mov_b64_e32 v[16:17], v[2:3]
	s_wait_kmcnt 0x0
	v_lshl_add_u64 v[14:15], v[12:13], 3, s[20:21]
	s_mov_b32 s30, 0
	s_branch .LBB41_10
.LBB41_9:                               ;   in Loop: Header=BB41_10 Depth=2
	s_or_b32 exec_lo, exec_lo, s10
	v_add_nc_u64_e32 v[12:13], 4, v[12:13]
	s_xor_b32 s25, vcc_lo, -1
	v_add_nc_u64_e32 v[14:15], 32, v[14:15]
	v_mov_b64_e32 v[16:17], v[18:19]
	s_delay_alu instid0(VALU_DEP_3) | instskip(SKIP_1) | instid1(SALU_CYCLE_1)
	v_cmp_ge_i64_e64 s10, v[12:13], v[2:3]
	s_or_b32 s10, s25, s10
	s_and_b32 s10, exec_lo, s10
	s_delay_alu instid0(SALU_CYCLE_1) | instskip(NEXT) | instid1(SALU_CYCLE_1)
	s_or_b32 s30, s10, s30
	s_and_not1_b32 exec_lo, exec_lo, s30
	s_cbranch_execz .LBB41_18
.LBB41_10:                              ;   Parent Loop BB41_7 Depth=1
                                        ; =>  This Inner Loop Header: Depth=2
	global_load_b64 v[18:19], v[14:15], off
                                        ; implicit-def: $vgpr20_vgpr21
	s_mov_b32 s10, exec_lo
	s_wait_loadcnt 0x0
	v_sub_nc_u64_e64 v[18:19], v[18:19], s[18:19]
	s_delay_alu instid0(VALU_DEP_1) | instskip(SKIP_1) | instid1(VALU_DEP_1)
	v_or_b32_e32 v7, s15, v19
	s_wait_xcnt 0x0
	v_cmpx_ne_u64_e32 0, v[6:7]
	s_xor_b32 s31, exec_lo, s10
	s_cbranch_execz .LBB41_12
; %bb.11:                               ;   in Loop: Header=BB41_10 Depth=2
	s_mov_b32 s25, s24
	v_dual_mov_b32 v27, v6 :: v_dual_ashrrev_i32 v20, 31, v19
	s_add_nc_u64 s[26:27], s[14:15], s[24:25]
	v_mov_b32_e32 v35, v6
	s_xor_b64 s[26:27], s[26:27], s[24:25]
	s_delay_alu instid0(VALU_DEP_2) | instskip(SKIP_3) | instid1(VALU_DEP_1)
	v_mov_b32_e32 v21, v20
	s_cvt_f32_u32 s10, s26
	s_cvt_f32_u32 s25, s27
	s_sub_nc_u64 s[36:37], 0, s[26:27]
	v_add_nc_u64_e32 v[18:19], v[18:19], v[20:21]
	s_delay_alu instid0(SALU_CYCLE_1) | instskip(SKIP_1) | instid1(SALU_CYCLE_2)
	s_fmamk_f32 s10, s25, 0x4f800000, s10
	v_mov_b32_e32 v31, v6
	v_s_rcp_f32 s10, s10
	s_delay_alu instid0(VALU_DEP_2) | instskip(NEXT) | instid1(VALU_DEP_3)
	v_xor_b32_e32 v26, v18, v20
	v_xor_b32_e32 v30, v19, v20
	s_delay_alu instid0(TRANS32_DEP_1) | instskip(NEXT) | instid1(SALU_CYCLE_3)
	s_mul_f32 s10, s10, 0x5f7ffffc
	s_mul_f32 s25, s10, 0x2f800000
	s_delay_alu instid0(SALU_CYCLE_3) | instskip(NEXT) | instid1(SALU_CYCLE_3)
	s_trunc_f32 s25, s25
	s_fmamk_f32 s10, s25, 0xcf800000, s10
	s_cvt_u32_f32 s35, s25
	s_delay_alu instid0(SALU_CYCLE_2) | instskip(NEXT) | instid1(SALU_CYCLE_3)
	s_cvt_u32_f32 s34, s10
	s_mul_u64 s[38:39], s[36:37], s[34:35]
	s_delay_alu instid0(SALU_CYCLE_1)
	s_mul_hi_u32 s41, s34, s39
	s_mul_i32 s40, s34, s39
	s_mul_hi_u32 s10, s34, s38
	s_mul_i32 s33, s35, s38
	s_add_nc_u64 s[40:41], s[10:11], s[40:41]
	s_mul_hi_u32 s25, s35, s38
	s_mul_hi_u32 s42, s35, s39
	s_add_co_u32 s10, s40, s33
	s_add_co_ci_u32 s10, s41, s25
	s_mul_i32 s38, s35, s39
	s_add_co_ci_u32 s39, s42, 0
	s_delay_alu instid0(SALU_CYCLE_1) | instskip(NEXT) | instid1(SALU_CYCLE_1)
	s_add_nc_u64 s[38:39], s[10:11], s[38:39]
	s_add_co_u32 s34, s34, s38
	s_cselect_b32 s10, -1, 0
	s_delay_alu instid0(SALU_CYCLE_1) | instskip(SKIP_1) | instid1(SALU_CYCLE_1)
	s_cmp_lg_u32 s10, 0
	s_add_co_ci_u32 s35, s35, s39
	s_mul_u64 s[36:37], s[36:37], s[34:35]
	s_delay_alu instid0(SALU_CYCLE_1)
	s_mul_hi_u32 s39, s34, s37
	s_mul_i32 s38, s34, s37
	s_mul_hi_u32 s10, s34, s36
	s_mul_i32 s33, s35, s36
	s_add_nc_u64 s[38:39], s[10:11], s[38:39]
	s_mul_hi_u32 s25, s35, s36
	s_mul_hi_u32 s40, s35, s37
	s_add_co_u32 s10, s38, s33
	s_add_co_ci_u32 s10, s39, s25
	s_mul_i32 s36, s35, s37
	s_add_co_ci_u32 s37, s40, 0
	s_delay_alu instid0(SALU_CYCLE_1) | instskip(NEXT) | instid1(SALU_CYCLE_1)
	s_add_nc_u64 s[36:37], s[10:11], s[36:37]
	s_add_co_u32 s34, s34, s36
	s_cselect_b32 s10, -1, 0
	v_mul_hi_u32 v34, v26, s34
	s_cmp_lg_u32 s10, 0
	s_add_co_ci_u32 s10, s35, s37
	s_and_b64 s[36:37], s[34:35], s[22:23]
	v_mul_u64_e32 v[28:29], s[10:11], v[26:27]
	v_mul_u64_e32 v[18:19], s[36:37], v[30:31]
	;; [unrolled: 1-line block ×3, first 2 shown]
	s_delay_alu instid0(VALU_DEP_3) | instskip(NEXT) | instid1(VALU_DEP_1)
	v_add_nc_u64_e32 v[28:29], v[34:35], v[28:29]
	v_add_co_u32 v7, vcc_lo, v28, v18
	s_delay_alu instid0(VALU_DEP_2) | instskip(NEXT) | instid1(VALU_DEP_4)
	v_add_co_ci_u32_e32 v34, vcc_lo, v29, v19, vcc_lo
	v_add_co_ci_u32_e32 v33, vcc_lo, 0, v33, vcc_lo
	s_delay_alu instid0(VALU_DEP_1) | instskip(NEXT) | instid1(VALU_DEP_1)
	v_add_nc_u64_e32 v[18:19], v[34:35], v[32:33]
	v_mul_u64_e32 v[28:29], s[26:27], v[18:19]
	s_delay_alu instid0(VALU_DEP_1) | instskip(NEXT) | instid1(VALU_DEP_2)
	v_sub_nc_u32_e32 v7, v30, v29
	v_sub_co_u32 v21, vcc_lo, v26, v28
	s_delay_alu instid0(VALU_DEP_1) | instskip(NEXT) | instid1(VALU_DEP_3)
	v_sub_co_ci_u32_e64 v30, null, v30, v29, vcc_lo
	v_subrev_co_ci_u32_e64 v7, null, s27, v7, vcc_lo
	s_delay_alu instid0(VALU_DEP_3) | instskip(SKIP_1) | instid1(VALU_DEP_3)
	v_sub_co_u32 v26, s10, v21, s26
	v_add_nc_u64_e32 v[28:29], 1, v[18:19]
	v_subrev_co_ci_u32_e64 v7, null, 0, v7, s10
	s_delay_alu instid0(VALU_DEP_3) | instskip(SKIP_1) | instid1(VALU_DEP_3)
	v_cmp_le_u32_e32 vcc_lo, s26, v26
	v_cndmask_b32_e64 v26, 0, -1, vcc_lo
	v_cmp_le_u32_e32 vcc_lo, s27, v7
	v_cndmask_b32_e64 v27, 0, -1, vcc_lo
	;; [unrolled: 2-line block ×4, first 2 shown]
	v_cmp_eq_u32_e32 vcc_lo, s27, v7
	v_cndmask_b32_e32 v7, v27, v26, vcc_lo
	v_cmp_eq_u32_e32 vcc_lo, s27, v30
	v_add_nc_u64_e32 v[26:27], 2, v[18:19]
	v_cndmask_b32_e32 v21, v31, v21, vcc_lo
	s_delay_alu instid0(VALU_DEP_4) | instskip(NEXT) | instid1(VALU_DEP_3)
	v_cmp_ne_u32_e32 vcc_lo, 0, v7
	v_cndmask_b32_e32 v7, v29, v27, vcc_lo
	s_delay_alu instid0(VALU_DEP_3) | instskip(SKIP_1) | instid1(VALU_DEP_1)
	v_cmp_ne_u32_e64 s10, 0, v21
	v_dual_cndmask_b32 v21, v28, v26, vcc_lo :: v_dual_bitop2_b32 v20, s24, v20 bitop3:0x14
	v_dual_cndmask_b32 v7, v19, v7, s10 :: v_dual_cndmask_b32 v18, v18, v21, s10
	s_delay_alu instid0(VALU_DEP_1) | instskip(NEXT) | instid1(VALU_DEP_2)
	v_dual_mov_b32 v21, v20 :: v_dual_bitop2_b32 v19, v7, v20 bitop3:0x14
	v_xor_b32_e32 v18, v18, v20
	s_delay_alu instid0(VALU_DEP_1)
	v_sub_nc_u64_e32 v[20:21], v[18:19], v[20:21]
                                        ; implicit-def: $vgpr18_vgpr19
.LBB41_12:                              ;   in Loop: Header=BB41_10 Depth=2
	s_and_not1_saveexec_b32 s10, s31
	s_cbranch_execz .LBB41_14
; %bb.13:                               ;   in Loop: Header=BB41_10 Depth=2
	v_cvt_f32_u32_e32 v7, s14
	v_mov_b32_e32 v21, v6
	s_delay_alu instid0(VALU_DEP_2) | instskip(SKIP_1) | instid1(TRANS32_DEP_1)
	v_rcp_iflag_f32_e32 v7, v7
	v_nop
	v_mul_f32_e32 v7, 0x4f7ffffe, v7
	s_delay_alu instid0(VALU_DEP_1) | instskip(NEXT) | instid1(VALU_DEP_1)
	v_cvt_u32_f32_e32 v7, v7
	v_mul_lo_u32 v19, s28, v7
	s_delay_alu instid0(VALU_DEP_1) | instskip(NEXT) | instid1(VALU_DEP_1)
	v_mul_hi_u32 v19, v7, v19
	v_add_nc_u32_e32 v7, v7, v19
	s_delay_alu instid0(VALU_DEP_1) | instskip(NEXT) | instid1(VALU_DEP_1)
	v_mul_hi_u32 v7, v18, v7
	v_mul_lo_u32 v19, v7, s14
	s_delay_alu instid0(VALU_DEP_1) | instskip(SKIP_1) | instid1(VALU_DEP_2)
	v_sub_nc_u32_e32 v18, v18, v19
	v_add_nc_u32_e32 v19, 1, v7
	v_subrev_nc_u32_e32 v20, s14, v18
	v_cmp_le_u32_e32 vcc_lo, s14, v18
	s_delay_alu instid0(VALU_DEP_2) | instskip(NEXT) | instid1(VALU_DEP_1)
	v_dual_cndmask_b32 v18, v18, v20 :: v_dual_cndmask_b32 v7, v7, v19
	v_cmp_le_u32_e32 vcc_lo, s14, v18
	s_delay_alu instid0(VALU_DEP_2) | instskip(NEXT) | instid1(VALU_DEP_1)
	v_add_nc_u32_e32 v19, 1, v7
	v_cndmask_b32_e32 v20, v7, v19, vcc_lo
.LBB41_14:                              ;   in Loop: Header=BB41_10 Depth=2
	s_or_b32 exec_lo, exec_lo, s10
	s_delay_alu instid0(VALU_DEP_1) | instskip(SKIP_2) | instid1(SALU_CYCLE_1)
	v_cmp_ne_u64_e64 s10, v[20:21], v[10:11]
	v_cmp_eq_u64_e32 vcc_lo, v[20:21], v[10:11]
	s_and_saveexec_b32 s25, s10
	s_xor_b32 s10, exec_lo, s25
; %bb.15:                               ;   in Loop: Header=BB41_10 Depth=2
	v_min_i64 v[8:9], v[20:21], v[8:9]
                                        ; implicit-def: $vgpr16_vgpr17
; %bb.16:                               ;   in Loop: Header=BB41_10 Depth=2
	s_or_saveexec_b32 s10, s10
	v_mov_b64_e32 v[18:19], v[12:13]
	s_xor_b32 exec_lo, exec_lo, s10
	s_cbranch_execz .LBB41_9
; %bb.17:                               ;   in Loop: Header=BB41_10 Depth=2
	v_mov_b64_e32 v[18:19], v[16:17]
	ds_store_b8 v6, v25 offset:2056
	s_branch .LBB41_9
.LBB41_18:                              ;   in Loop: Header=BB41_7 Depth=1
	s_or_b32 exec_lo, exec_lo, s30
.LBB41_19:                              ;   in Loop: Header=BB41_7 Depth=1
	s_delay_alu instid0(SALU_CYCLE_1)
	s_or_b32 exec_lo, exec_lo, s29
	ds_bpermute_b32 v10, v23, v18
	ds_bpermute_b32 v11, v23, v19
	s_wait_dscnt 0x0
	s_barrier_signal -1
	s_barrier_wait -1
	ds_load_u8 v7, v6 offset:2056
	v_min_i64 v[10:11], v[10:11], v[18:19]
	s_wait_dscnt 0x0
	v_readfirstlane_b32 s10, v7
	s_bitcmp1_b32 s10, 0
	s_cselect_b32 s10, -1, 0
	s_delay_alu instid0(SALU_CYCLE_1)
	s_and_b32 s25, s2, s10
	ds_bpermute_b32 v12, v24, v10
	ds_bpermute_b32 v13, v24, v11
	s_wait_dscnt 0x0
	v_min_i64 v[10:11], v[12:13], v[10:11]
	ds_bpermute_b32 v12, v22, v10
	ds_bpermute_b32 v13, v22, v11
	s_and_saveexec_b32 s10, s25
	s_cbranch_execz .LBB41_21
; %bb.20:                               ;   in Loop: Header=BB41_7 Depth=1
	ds_load_b64 v[10:11], v6 offset:2048
	s_wait_dscnt 0x0
	v_add_nc_u64_e32 v[10:11], 1, v[10:11]
	ds_store_b64 v6, v[10:11] offset:2048
.LBB41_21:                              ;   in Loop: Header=BB41_7 Depth=1
	s_or_b32 exec_lo, exec_lo, s10
	ds_store_b64 v1, v[8:9]
	s_wait_dscnt 0x0
	s_barrier_signal -1
	s_barrier_wait -1
	s_and_saveexec_b32 s10, s3
	s_cbranch_execz .LBB41_23
; %bb.22:                               ;   in Loop: Header=BB41_7 Depth=1
	ds_load_2addr_stride64_b64 v[8:11], v1 offset1:2
	s_wait_dscnt 0x0
	v_min_i64 v[8:9], v[10:11], v[8:9]
	ds_store_b64 v1, v[8:9]
.LBB41_23:                              ;   in Loop: Header=BB41_7 Depth=1
	s_or_b32 exec_lo, exec_lo, s10
	s_wait_dscnt 0x0
	s_barrier_signal -1
	s_barrier_wait -1
	s_and_saveexec_b32 s10, s4
	s_cbranch_execz .LBB41_25
; %bb.24:                               ;   in Loop: Header=BB41_7 Depth=1
	ds_load_2addr_stride64_b64 v[8:11], v1 offset1:1
	s_wait_dscnt 0x0
	v_min_i64 v[8:9], v[10:11], v[8:9]
	ds_store_b64 v1, v[8:9]
.LBB41_25:                              ;   in Loop: Header=BB41_7 Depth=1
	s_or_b32 exec_lo, exec_lo, s10
	s_wait_dscnt 0x0
	s_barrier_signal -1
	s_barrier_wait -1
	s_and_saveexec_b32 s10, s5
	s_cbranch_execz .LBB41_27
; %bb.26:                               ;   in Loop: Header=BB41_7 Depth=1
	ds_load_2addr_b64 v[8:11], v1 offset1:32
	s_wait_dscnt 0x0
	v_min_i64 v[8:9], v[10:11], v[8:9]
	ds_store_b64 v1, v[8:9]
.LBB41_27:                              ;   in Loop: Header=BB41_7 Depth=1
	s_or_b32 exec_lo, exec_lo, s10
	s_wait_dscnt 0x0
	s_barrier_signal -1
	s_barrier_wait -1
	s_and_saveexec_b32 s10, s6
	s_cbranch_execz .LBB41_29
; %bb.28:                               ;   in Loop: Header=BB41_7 Depth=1
	ds_load_2addr_b64 v[8:11], v1 offset1:16
	s_wait_dscnt 0x0
	v_min_i64 v[8:9], v[10:11], v[8:9]
	ds_store_b64 v1, v[8:9]
.LBB41_29:                              ;   in Loop: Header=BB41_7 Depth=1
	;; [unrolled: 12-line block ×5, first 2 shown]
	s_or_b32 exec_lo, exec_lo, s10
	s_wait_dscnt 0x0
	s_barrier_signal -1
	s_barrier_wait -1
	s_and_saveexec_b32 s10, s2
	s_cbranch_execz .LBB41_6
; %bb.36:                               ;   in Loop: Header=BB41_7 Depth=1
	ds_load_b128 v[8:11], v6
	s_wait_dscnt 0x0
	v_min_i64 v[8:9], v[10:11], v[8:9]
	ds_store_b64 v6, v[8:9]
	s_branch .LBB41_6
.LBB41_37:
	s_mov_b32 s2, exec_lo
	v_cmpx_eq_u32_e32 0, v0
	s_cbranch_execz .LBB41_39
; %bb.38:
	s_load_b32 s2, s[0:1], 0x40
	v_mov_b32_e32 v1, 0
	s_wait_xcnt 0x0
	s_load_b64 s[0:1], s[0:1], 0x48
	s_wait_kmcnt 0x0
	v_mov_b32_e32 v0, s2
	ds_load_b64 v[2:3], v1 offset:2048
	s_lshl_b64 s[2:3], s[16:17], 3
	s_delay_alu instid0(SALU_CYCLE_1)
	s_add_nc_u64 s[2:3], s[0:1], s[2:3]
	global_store_b64 v1, v[0:1], s[0:1]
	s_wait_dscnt 0x0
	global_store_b64 v1, v[2:3], s[2:3] offset:8
.LBB41_39:
	s_endpgm
	.section	.rodata,"a",@progbits
	.p2align	6, 0x0
	.amdhsa_kernel _ZN9rocsparseL42csr2bsr_nnz_block_per_row_multipass_kernelILj256ELj64EllEEvT2_S1_S1_S1_S1_21rocsparse_index_base_PKT1_PKS1_S2_PS3_
		.amdhsa_group_segment_fixed_size 2064
		.amdhsa_private_segment_fixed_size 0
		.amdhsa_kernarg_size 80
		.amdhsa_user_sgpr_count 2
		.amdhsa_user_sgpr_dispatch_ptr 0
		.amdhsa_user_sgpr_queue_ptr 0
		.amdhsa_user_sgpr_kernarg_segment_ptr 1
		.amdhsa_user_sgpr_dispatch_id 0
		.amdhsa_user_sgpr_kernarg_preload_length 0
		.amdhsa_user_sgpr_kernarg_preload_offset 0
		.amdhsa_user_sgpr_private_segment_size 0
		.amdhsa_wavefront_size32 1
		.amdhsa_uses_dynamic_stack 0
		.amdhsa_enable_private_segment 0
		.amdhsa_system_sgpr_workgroup_id_x 1
		.amdhsa_system_sgpr_workgroup_id_y 0
		.amdhsa_system_sgpr_workgroup_id_z 0
		.amdhsa_system_sgpr_workgroup_info 0
		.amdhsa_system_vgpr_workitem_id 0
		.amdhsa_next_free_vgpr 36
		.amdhsa_next_free_sgpr 43
		.amdhsa_named_barrier_count 0
		.amdhsa_reserve_vcc 1
		.amdhsa_float_round_mode_32 0
		.amdhsa_float_round_mode_16_64 0
		.amdhsa_float_denorm_mode_32 3
		.amdhsa_float_denorm_mode_16_64 3
		.amdhsa_fp16_overflow 0
		.amdhsa_memory_ordered 1
		.amdhsa_forward_progress 1
		.amdhsa_inst_pref_size 17
		.amdhsa_round_robin_scheduling 0
		.amdhsa_exception_fp_ieee_invalid_op 0
		.amdhsa_exception_fp_denorm_src 0
		.amdhsa_exception_fp_ieee_div_zero 0
		.amdhsa_exception_fp_ieee_overflow 0
		.amdhsa_exception_fp_ieee_underflow 0
		.amdhsa_exception_fp_ieee_inexact 0
		.amdhsa_exception_int_div_zero 0
	.end_amdhsa_kernel
	.section	.text._ZN9rocsparseL42csr2bsr_nnz_block_per_row_multipass_kernelILj256ELj64EllEEvT2_S1_S1_S1_S1_21rocsparse_index_base_PKT1_PKS1_S2_PS3_,"axG",@progbits,_ZN9rocsparseL42csr2bsr_nnz_block_per_row_multipass_kernelILj256ELj64EllEEvT2_S1_S1_S1_S1_21rocsparse_index_base_PKT1_PKS1_S2_PS3_,comdat
.Lfunc_end41:
	.size	_ZN9rocsparseL42csr2bsr_nnz_block_per_row_multipass_kernelILj256ELj64EllEEvT2_S1_S1_S1_S1_21rocsparse_index_base_PKT1_PKS1_S2_PS3_, .Lfunc_end41-_ZN9rocsparseL42csr2bsr_nnz_block_per_row_multipass_kernelILj256ELj64EllEEvT2_S1_S1_S1_S1_21rocsparse_index_base_PKT1_PKS1_S2_PS3_
                                        ; -- End function
	.set _ZN9rocsparseL42csr2bsr_nnz_block_per_row_multipass_kernelILj256ELj64EllEEvT2_S1_S1_S1_S1_21rocsparse_index_base_PKT1_PKS1_S2_PS3_.num_vgpr, 36
	.set _ZN9rocsparseL42csr2bsr_nnz_block_per_row_multipass_kernelILj256ELj64EllEEvT2_S1_S1_S1_S1_21rocsparse_index_base_PKT1_PKS1_S2_PS3_.num_agpr, 0
	.set _ZN9rocsparseL42csr2bsr_nnz_block_per_row_multipass_kernelILj256ELj64EllEEvT2_S1_S1_S1_S1_21rocsparse_index_base_PKT1_PKS1_S2_PS3_.numbered_sgpr, 43
	.set _ZN9rocsparseL42csr2bsr_nnz_block_per_row_multipass_kernelILj256ELj64EllEEvT2_S1_S1_S1_S1_21rocsparse_index_base_PKT1_PKS1_S2_PS3_.num_named_barrier, 0
	.set _ZN9rocsparseL42csr2bsr_nnz_block_per_row_multipass_kernelILj256ELj64EllEEvT2_S1_S1_S1_S1_21rocsparse_index_base_PKT1_PKS1_S2_PS3_.private_seg_size, 0
	.set _ZN9rocsparseL42csr2bsr_nnz_block_per_row_multipass_kernelILj256ELj64EllEEvT2_S1_S1_S1_S1_21rocsparse_index_base_PKT1_PKS1_S2_PS3_.uses_vcc, 1
	.set _ZN9rocsparseL42csr2bsr_nnz_block_per_row_multipass_kernelILj256ELj64EllEEvT2_S1_S1_S1_S1_21rocsparse_index_base_PKT1_PKS1_S2_PS3_.uses_flat_scratch, 0
	.set _ZN9rocsparseL42csr2bsr_nnz_block_per_row_multipass_kernelILj256ELj64EllEEvT2_S1_S1_S1_S1_21rocsparse_index_base_PKT1_PKS1_S2_PS3_.has_dyn_sized_stack, 0
	.set _ZN9rocsparseL42csr2bsr_nnz_block_per_row_multipass_kernelILj256ELj64EllEEvT2_S1_S1_S1_S1_21rocsparse_index_base_PKT1_PKS1_S2_PS3_.has_recursion, 0
	.set _ZN9rocsparseL42csr2bsr_nnz_block_per_row_multipass_kernelILj256ELj64EllEEvT2_S1_S1_S1_S1_21rocsparse_index_base_PKT1_PKS1_S2_PS3_.has_indirect_call, 0
	.section	.AMDGPU.csdata,"",@progbits
; Kernel info:
; codeLenInByte = 2140
; TotalNumSgprs: 45
; NumVgprs: 36
; ScratchSize: 0
; MemoryBound: 0
; FloatMode: 240
; IeeeMode: 1
; LDSByteSize: 2064 bytes/workgroup (compile time only)
; SGPRBlocks: 0
; VGPRBlocks: 2
; NumSGPRsForWavesPerEU: 45
; NumVGPRsForWavesPerEU: 36
; NamedBarCnt: 0
; Occupancy: 16
; WaveLimiterHint : 0
; COMPUTE_PGM_RSRC2:SCRATCH_EN: 0
; COMPUTE_PGM_RSRC2:USER_SGPR: 2
; COMPUTE_PGM_RSRC2:TRAP_HANDLER: 0
; COMPUTE_PGM_RSRC2:TGID_X_EN: 1
; COMPUTE_PGM_RSRC2:TGID_Y_EN: 0
; COMPUTE_PGM_RSRC2:TGID_Z_EN: 0
; COMPUTE_PGM_RSRC2:TIDIG_COMP_CNT: 0
	.section	.text._ZN9rocsparseL25csr2bsr_nnz_65_inf_kernelILj32EllEEvT1_S1_S1_S1_S1_S1_21rocsparse_index_base_PKT0_PKS1_S2_PS3_S8_,"axG",@progbits,_ZN9rocsparseL25csr2bsr_nnz_65_inf_kernelILj32EllEEvT1_S1_S1_S1_S1_S1_21rocsparse_index_base_PKT0_PKS1_S2_PS3_S8_,comdat
	.globl	_ZN9rocsparseL25csr2bsr_nnz_65_inf_kernelILj32EllEEvT1_S1_S1_S1_S1_S1_21rocsparse_index_base_PKT0_PKS1_S2_PS3_S8_ ; -- Begin function _ZN9rocsparseL25csr2bsr_nnz_65_inf_kernelILj32EllEEvT1_S1_S1_S1_S1_S1_21rocsparse_index_base_PKT0_PKS1_S2_PS3_S8_
	.p2align	8
	.type	_ZN9rocsparseL25csr2bsr_nnz_65_inf_kernelILj32EllEEvT1_S1_S1_S1_S1_S1_21rocsparse_index_base_PKT0_PKS1_S2_PS3_S8_,@function
_ZN9rocsparseL25csr2bsr_nnz_65_inf_kernelILj32EllEEvT1_S1_S1_S1_S1_S1_21rocsparse_index_base_PKT0_PKS1_S2_PS3_S8_: ; @_ZN9rocsparseL25csr2bsr_nnz_65_inf_kernelILj32EllEEvT1_S1_S1_S1_S1_S1_21rocsparse_index_base_PKT0_PKS1_S2_PS3_S8_
; %bb.0:
	s_load_b256 s[4:11], s[0:1], 0x10
	v_mov_b32_e32 v1, 0
	s_load_b64 s[2:3], s[0:1], 0x58
	s_bfe_u32 s12, ttmp6, 0x4000c
	s_and_b32 s14, ttmp6, 15
	s_add_co_i32 s12, s12, 1
	s_getreg_b32 s15, hwreg(HW_REG_IB_STS2, 6, 4)
	s_mul_i32 s12, ttmp9, s12
	s_mov_b32 s13, 0
	s_add_co_i32 s12, s14, s12
	s_load_b32 s14, s[0:1], 0x30
	s_cmp_eq_u32 s15, 0
	s_cselect_b32 s12, ttmp9, s12
	s_wait_kmcnt 0x0
	v_mul_u64_e32 v[2:3], s[10:11], v[0:1]
	s_mul_u64 s[16:17], s[12:13], s[10:11]
	s_lshl_b64 s[18:19], s[10:11], 8
	s_lshl_b64 s[16:17], s[16:17], 9
	v_cmp_lt_i64_e64 s15, s[10:11], 1
	s_add_nc_u64 s[2:3], s[2:3], s[16:17]
	v_cmp_gt_i64_e64 s30, s[10:11], 0
	s_add_nc_u64 s[16:17], s[2:3], s[18:19]
	s_and_b32 vcc_lo, exec_lo, s15
	v_lshlrev_b64_e32 v[4:5], 3, v[2:3]
	s_delay_alu instid0(VALU_DEP_1)
	v_add_nc_u64_e32 v[2:3], s[2:3], v[4:5]
	v_add_nc_u64_e32 v[4:5], s[16:17], v[4:5]
	s_cbranch_vccnz .LBB42_5
; %bb.1:
	s_clause 0x1
	s_load_b64 s[2:3], s[0:1], 0x38
	s_load_b64 s[18:19], s[0:1], 0x0
	s_mul_u64 s[16:17], s[8:9], s[12:13]
	s_delay_alu instid0(VALU_DEP_1)
	v_mov_b64_e32 v[10:11], v[4:5]
	v_add_nc_u64_e32 v[6:7], s[16:17], v[0:1]
	v_mov_b64_e32 v[12:13], v[0:1]
	v_mov_b64_e32 v[14:15], v[2:3]
	s_mov_b32 s15, s13
	s_mov_b64 s[20:21], s[10:11]
	s_wait_kmcnt 0x0
	s_delay_alu instid0(VALU_DEP_3) | instskip(SKIP_1) | instid1(VALU_DEP_2)
	v_lshl_add_u64 v[8:9], v[6:7], 3, s[2:3]
	v_mov_b64_e32 v[6:7], 0
	v_add_nc_u64_e32 v[8:9], 8, v[8:9]
	s_branch .LBB42_3
.LBB42_2:                               ;   in Loop: Header=BB42_3 Depth=1
	s_wait_xcnt 0x0
	s_or_b32 exec_lo, exec_lo, s2
	v_add_nc_u64_e32 v[14:15], 8, v[14:15]
	v_add_nc_u64_e32 v[8:9], 0x100, v[8:9]
	;; [unrolled: 1-line block ×4, first 2 shown]
	s_add_nc_u64 s[20:21], s[20:21], -1
	s_delay_alu instid0(SALU_CYCLE_1)
	s_cmp_eq_u64 s[20:21], 0
	s_cbranch_scc1 .LBB42_5
.LBB42_3:                               ; =>This Inner Loop Header: Depth=1
	s_delay_alu instid0(VALU_DEP_2)
	v_add_nc_u64_e32 v[16:17], s[16:17], v[12:13]
	v_cmp_gt_i64_e64 s2, s[8:9], v[12:13]
	global_store_b64 v[14:15], v[6:7], off
	global_store_b64 v[10:11], v[6:7], off
	v_cmp_gt_i64_e32 vcc_lo, s[18:19], v[16:17]
	s_and_b32 s3, vcc_lo, s2
	s_wait_xcnt 0x0
	s_and_saveexec_b32 s2, s3
	s_cbranch_execz .LBB42_2
; %bb.4:                                ;   in Loop: Header=BB42_3 Depth=1
	global_load_b128 v[16:19], v[8:9], off offset:-8
	s_wait_loadcnt 0x0
	v_sub_nc_u64_e64 v[16:17], v[16:17], s[14:15]
	v_sub_nc_u64_e64 v[18:19], v[18:19], s[14:15]
	global_store_b64 v[14:15], v[16:17], off
	global_store_b64 v[10:11], v[18:19], off
	s_branch .LBB42_2
.LBB42_5:
	s_load_b64 s[16:17], s[0:1], 0x50
	v_cmp_lt_i64_e64 s2, s[6:7], 1
	s_and_b32 vcc_lo, exec_lo, s2
	v_cmp_eq_u32_e64 s2, 31, v0
	s_cbranch_vccnz .LBB42_24
; %bb.6:
	v_mbcnt_lo_u32_b32 v1, -1, 0
	s_load_b64 s[18:19], s[0:1], 0x40
	s_mov_b32 s21, 0
	s_mov_b64 s[22:23], 0xffffffff
	s_mov_b32 s15, s21
	v_xor_b32_e32 v7, 8, v1
	v_xor_b32_e32 v6, 16, v1
	s_ashr_i32 s24, s9, 31
	s_sub_co_i32 s33, 0, s8
	s_mov_b32 s31, 0
	v_mov_b32_e32 v32, 0x7c
	v_cmp_gt_i32_e32 vcc_lo, 32, v6
	v_cndmask_b32_e32 v6, v1, v6, vcc_lo
	v_cmp_gt_i32_e32 vcc_lo, 32, v7
	v_xor_b32_e32 v10, 1, v1
	v_dual_cndmask_b32 v7, v1, v7, vcc_lo :: v_dual_bitop2_b32 v8, 4, v1 bitop3:0x14
	s_delay_alu instid0(VALU_DEP_1) | instskip(NEXT) | instid1(VALU_DEP_2)
	v_cmp_gt_i32_e32 vcc_lo, 32, v8
	v_dual_lshlrev_b32 v28, 2, v7 :: v_dual_bitop2_b32 v9, 2, v1 bitop3:0x14
	v_cndmask_b32_e32 v8, v1, v8, vcc_lo
	s_delay_alu instid0(VALU_DEP_2) | instskip(SKIP_2) | instid1(VALU_DEP_4)
	v_cmp_gt_i32_e32 vcc_lo, 32, v9
	v_cndmask_b32_e32 v9, v1, v9, vcc_lo
	v_cmp_gt_i32_e32 vcc_lo, 32, v10
	v_dual_mov_b32 v8, 0 :: v_dual_lshlrev_b32 v29, 2, v8
	s_delay_alu instid0(VALU_DEP_3) | instskip(SKIP_2) | instid1(VALU_DEP_3)
	v_dual_lshlrev_b32 v30, 2, v9 :: v_dual_cndmask_b32 v10, v1, v10, vcc_lo
	v_lshlrev_b32_e32 v1, 2, v6
	v_mov_b64_e32 v[6:7], 0
	v_lshlrev_b32_e32 v31, 2, v10
	v_mov_b64_e32 v[10:11], 0
	s_branch .LBB42_8
.LBB42_7:                               ;   in Loop: Header=BB42_8 Depth=1
	ds_bpermute_b32 v10, v1, v12
	ds_bpermute_b32 v11, v1, v13
	s_wait_dscnt 0x0
	v_min_i64 v[10:11], v[10:11], v[12:13]
	ds_bpermute_b32 v12, v28, v10
	ds_bpermute_b32 v13, v28, v11
	s_wait_dscnt 0x0
	v_min_i64 v[10:11], v[12:13], v[10:11]
	;; [unrolled: 4-line block ×5, first 2 shown]
	v_mov_b32_e32 v13, s21
	ds_bpermute_b32 v10, v32, v10
	ds_bpermute_b32 v11, v32, v11
	s_wait_dscnt 0x0
	v_cmp_gt_i64_e32 vcc_lo, s[6:7], v[10:11]
	v_add_nc_u64_e32 v[10:11], 1, v[10:11]
	s_and_b32 s3, s2, vcc_lo
	s_delay_alu instid0(VALU_DEP_1) | instskip(SKIP_1) | instid1(VALU_DEP_1)
	v_cmp_le_i64_e32 vcc_lo, s[6:7], v[10:11]
	v_cndmask_b32_e64 v12, 0, 1, s3
	v_add_nc_u64_e32 v[6:7], v[6:7], v[12:13]
	s_or_b32 s31, vcc_lo, s31
	s_delay_alu instid0(SALU_CYCLE_1)
	s_and_not1_b32 exec_lo, exec_lo, s31
	s_cbranch_execz .LBB42_23
.LBB42_8:                               ; =>This Loop Header: Depth=1
                                        ;     Child Loop BB42_12 Depth 2
                                        ;       Child Loop BB42_15 Depth 3
	v_mov_b64_e32 v[12:13], s[6:7]
	s_and_not1_b32 vcc_lo, exec_lo, s30
	s_cbranch_vccnz .LBB42_7
; %bb.9:                                ;   in Loop: Header=BB42_8 Depth=1
	v_mov_b64_e32 v[12:13], s[6:7]
	s_mov_b64 s[26:27], 0
	s_branch .LBB42_12
.LBB42_10:                              ;   in Loop: Header=BB42_12 Depth=2
	s_wait_xcnt 0x0
	s_or_b32 exec_lo, exec_lo, s3
.LBB42_11:                              ;   in Loop: Header=BB42_12 Depth=2
	s_delay_alu instid0(SALU_CYCLE_1) | instskip(SKIP_1) | instid1(SALU_CYCLE_1)
	s_or_b32 exec_lo, exec_lo, s34
	s_add_nc_u64 s[26:27], s[26:27], 1
	s_cmp_eq_u64 s[26:27], s[10:11]
	s_cbranch_scc1 .LBB42_7
.LBB42_12:                              ;   Parent Loop BB42_8 Depth=1
                                        ; =>  This Loop Header: Depth=2
                                        ;       Child Loop BB42_15 Depth 3
	s_lshl_b64 s[28:29], s[26:27], 3
	s_mov_b32 s34, exec_lo
	v_add_nc_u64_e32 v[14:15], s[28:29], v[2:3]
	v_add_nc_u64_e32 v[18:19], s[28:29], v[4:5]
	s_clause 0x1
	global_load_b64 v[26:27], v[14:15], off
	global_load_b64 v[16:17], v[18:19], off
	s_wait_loadcnt 0x0
	v_cmpx_lt_i64_e64 v[26:27], v[16:17]
	s_cbranch_execz .LBB42_11
; %bb.13:                               ;   in Loop: Header=BB42_12 Depth=2
	s_wait_kmcnt 0x0
	v_lshl_add_u64 v[18:19], v[26:27], 3, s[18:19]
	s_mov_b32 s35, 0
                                        ; implicit-def: $sgpr36
                                        ; implicit-def: $sgpr37
	s_branch .LBB42_15
.LBB42_14:                              ;   in Loop: Header=BB42_15 Depth=3
	s_or_b32 exec_lo, exec_lo, s20
	s_delay_alu instid0(SALU_CYCLE_1) | instskip(NEXT) | instid1(SALU_CYCLE_1)
	s_and_b32 s3, exec_lo, s3
	s_or_b32 s35, s3, s35
	s_and_not1_b32 s3, s36, exec_lo
	s_and_b32 s20, s37, exec_lo
	s_delay_alu instid0(SALU_CYCLE_1)
	s_or_b32 s36, s3, s20
	s_and_not1_b32 exec_lo, exec_lo, s35
	s_cbranch_execz .LBB42_21
.LBB42_15:                              ;   Parent Loop BB42_8 Depth=1
                                        ;     Parent Loop BB42_12 Depth=2
                                        ; =>    This Inner Loop Header: Depth=3
	global_load_b64 v[20:21], v[18:19], off
                                        ; implicit-def: $vgpr24_vgpr25
	s_mov_b32 s3, exec_lo
	s_wait_loadcnt 0x0
	v_sub_nc_u64_e64 v[22:23], v[20:21], s[14:15]
	v_mov_b64_e32 v[20:21], v[26:27]
	s_delay_alu instid0(VALU_DEP_2) | instskip(SKIP_1) | instid1(VALU_DEP_1)
	v_or_b32_e32 v9, s9, v23
	s_wait_xcnt 0x0
	v_cmpx_ne_u64_e32 0, v[8:9]
	s_xor_b32 s38, exec_lo, s3
	s_cbranch_execz .LBB42_17
; %bb.16:                               ;   in Loop: Header=BB42_15 Depth=3
	s_mov_b32 s25, s24
	v_dual_mov_b32 v27, v8 :: v_dual_ashrrev_i32 v24, 31, v23
	s_add_nc_u64 s[28:29], s[8:9], s[24:25]
	v_mov_b32_e32 v41, v8
	s_xor_b64 s[28:29], s[28:29], s[24:25]
	s_delay_alu instid0(VALU_DEP_2) | instskip(SKIP_3) | instid1(VALU_DEP_1)
	v_mov_b32_e32 v25, v24
	s_cvt_f32_u32 s3, s28
	s_cvt_f32_u32 s20, s29
	s_sub_nc_u64 s[42:43], 0, s[28:29]
	v_add_nc_u64_e32 v[22:23], v[22:23], v[24:25]
	s_delay_alu instid0(SALU_CYCLE_1) | instskip(SKIP_1) | instid1(SALU_CYCLE_2)
	s_fmamk_f32 s3, s20, 0x4f800000, s3
	v_mov_b32_e32 v37, v8
	v_s_rcp_f32 s3, s3
	s_delay_alu instid0(VALU_DEP_2) | instskip(NEXT) | instid1(VALU_DEP_3)
	v_xor_b32_e32 v26, v22, v24
	v_xor_b32_e32 v36, v23, v24
	s_delay_alu instid0(TRANS32_DEP_1) | instskip(NEXT) | instid1(SALU_CYCLE_3)
	s_mul_f32 s3, s3, 0x5f7ffffc
	s_mul_f32 s20, s3, 0x2f800000
	s_delay_alu instid0(SALU_CYCLE_3) | instskip(NEXT) | instid1(SALU_CYCLE_3)
	s_trunc_f32 s20, s20
	s_fmamk_f32 s3, s20, 0xcf800000, s3
	s_cvt_u32_f32 s41, s20
	s_delay_alu instid0(SALU_CYCLE_2) | instskip(NEXT) | instid1(SALU_CYCLE_3)
	s_cvt_u32_f32 s40, s3
	s_mul_u64 s[44:45], s[42:43], s[40:41]
	s_delay_alu instid0(SALU_CYCLE_1)
	s_mul_hi_u32 s47, s40, s45
	s_mul_i32 s46, s40, s45
	s_mul_hi_u32 s20, s40, s44
	s_mul_i32 s25, s41, s44
	s_add_nc_u64 s[46:47], s[20:21], s[46:47]
	s_mul_hi_u32 s3, s41, s44
	s_mul_hi_u32 s39, s41, s45
	s_add_co_u32 s20, s46, s25
	s_add_co_ci_u32 s20, s47, s3
	s_mul_i32 s44, s41, s45
	s_add_co_ci_u32 s45, s39, 0
	s_delay_alu instid0(SALU_CYCLE_1) | instskip(NEXT) | instid1(SALU_CYCLE_1)
	s_add_nc_u64 s[44:45], s[20:21], s[44:45]
	s_add_co_u32 s40, s40, s44
	s_cselect_b32 s3, -1, 0
	s_delay_alu instid0(SALU_CYCLE_1) | instskip(SKIP_1) | instid1(SALU_CYCLE_1)
	s_cmp_lg_u32 s3, 0
	s_add_co_ci_u32 s41, s41, s45
	s_mul_u64 s[42:43], s[42:43], s[40:41]
	s_delay_alu instid0(SALU_CYCLE_1)
	s_mul_hi_u32 s45, s40, s43
	s_mul_i32 s44, s40, s43
	s_mul_hi_u32 s20, s40, s42
	s_mul_i32 s25, s41, s42
	s_add_nc_u64 s[44:45], s[20:21], s[44:45]
	s_mul_hi_u32 s3, s41, s42
	s_mul_hi_u32 s39, s41, s43
	s_add_co_u32 s20, s44, s25
	s_add_co_ci_u32 s20, s45, s3
	s_mul_i32 s42, s41, s43
	s_add_co_ci_u32 s43, s39, 0
	s_delay_alu instid0(SALU_CYCLE_1) | instskip(NEXT) | instid1(SALU_CYCLE_1)
	s_add_nc_u64 s[42:43], s[20:21], s[42:43]
	s_add_co_u32 s40, s40, s42
	s_cselect_b32 s3, -1, 0
	v_mul_hi_u32 v40, v26, s40
	s_cmp_lg_u32 s3, 0
	s_add_co_ci_u32 s20, s41, s43
	s_and_b64 s[42:43], s[40:41], s[22:23]
	v_mul_u64_e32 v[34:35], s[20:21], v[26:27]
	v_mul_u64_e32 v[22:23], s[42:43], v[36:37]
	;; [unrolled: 1-line block ×3, first 2 shown]
	s_delay_alu instid0(VALU_DEP_3) | instskip(NEXT) | instid1(VALU_DEP_1)
	v_add_nc_u64_e32 v[34:35], v[40:41], v[34:35]
	v_add_co_u32 v9, vcc_lo, v34, v22
	s_delay_alu instid0(VALU_DEP_2) | instskip(NEXT) | instid1(VALU_DEP_4)
	v_add_co_ci_u32_e32 v40, vcc_lo, v35, v23, vcc_lo
	v_add_co_ci_u32_e32 v39, vcc_lo, 0, v39, vcc_lo
	s_delay_alu instid0(VALU_DEP_1) | instskip(NEXT) | instid1(VALU_DEP_1)
	v_add_nc_u64_e32 v[22:23], v[40:41], v[38:39]
	v_mul_u64_e32 v[34:35], s[28:29], v[22:23]
	s_delay_alu instid0(VALU_DEP_1) | instskip(NEXT) | instid1(VALU_DEP_2)
	v_sub_nc_u32_e32 v9, v36, v35
	v_sub_co_u32 v25, vcc_lo, v26, v34
	s_delay_alu instid0(VALU_DEP_1) | instskip(NEXT) | instid1(VALU_DEP_3)
	v_sub_co_ci_u32_e64 v33, null, v36, v35, vcc_lo
	v_subrev_co_ci_u32_e64 v9, null, s29, v9, vcc_lo
	s_delay_alu instid0(VALU_DEP_3) | instskip(SKIP_1) | instid1(VALU_DEP_3)
	v_sub_co_u32 v26, s3, v25, s28
	v_add_nc_u64_e32 v[34:35], 1, v[22:23]
	v_subrev_co_ci_u32_e64 v9, null, 0, v9, s3
	s_delay_alu instid0(VALU_DEP_3) | instskip(SKIP_1) | instid1(VALU_DEP_3)
	v_cmp_le_u32_e32 vcc_lo, s28, v26
	v_cndmask_b32_e64 v26, 0, -1, vcc_lo
	v_cmp_le_u32_e32 vcc_lo, s29, v9
	v_cndmask_b32_e64 v27, 0, -1, vcc_lo
	;; [unrolled: 2-line block ×4, first 2 shown]
	v_cmp_eq_u32_e32 vcc_lo, s29, v9
	v_cndmask_b32_e32 v9, v27, v26, vcc_lo
	v_cmp_eq_u32_e32 vcc_lo, s29, v33
	v_add_nc_u64_e32 v[26:27], 2, v[22:23]
	v_cndmask_b32_e32 v25, v36, v25, vcc_lo
	s_delay_alu instid0(VALU_DEP_4) | instskip(NEXT) | instid1(VALU_DEP_2)
	v_cmp_ne_u32_e32 vcc_lo, 0, v9
	v_cmp_ne_u32_e64 s3, 0, v25
	s_delay_alu instid0(VALU_DEP_4) | instskip(NEXT) | instid1(VALU_DEP_1)
	v_dual_cndmask_b32 v9, v35, v27, vcc_lo :: v_dual_cndmask_b32 v25, v34, v26, vcc_lo
	v_dual_cndmask_b32 v9, v23, v9, s3 :: v_dual_bitop2_b32 v24, s24, v24 bitop3:0x14
	s_delay_alu instid0(VALU_DEP_1) | instskip(NEXT) | instid1(VALU_DEP_2)
	v_dual_cndmask_b32 v22, v22, v25, s3 :: v_dual_mov_b32 v25, v24
	v_xor_b32_e32 v23, v9, v24
	s_delay_alu instid0(VALU_DEP_2) | instskip(NEXT) | instid1(VALU_DEP_1)
	v_xor_b32_e32 v22, v22, v24
	v_sub_nc_u64_e32 v[24:25], v[22:23], v[24:25]
                                        ; implicit-def: $vgpr22_vgpr23
.LBB42_17:                              ;   in Loop: Header=BB42_15 Depth=3
	s_and_not1_saveexec_b32 s3, s38
	s_cbranch_execz .LBB42_19
; %bb.18:                               ;   in Loop: Header=BB42_15 Depth=3
	v_cvt_f32_u32_e32 v9, s8
	v_mov_b32_e32 v25, v8
	s_delay_alu instid0(VALU_DEP_2) | instskip(SKIP_1) | instid1(TRANS32_DEP_1)
	v_rcp_iflag_f32_e32 v9, v9
	v_nop
	v_mul_f32_e32 v9, 0x4f7ffffe, v9
	s_delay_alu instid0(VALU_DEP_1) | instskip(NEXT) | instid1(VALU_DEP_1)
	v_cvt_u32_f32_e32 v9, v9
	v_mul_lo_u32 v23, s33, v9
	s_delay_alu instid0(VALU_DEP_1) | instskip(NEXT) | instid1(VALU_DEP_1)
	v_mul_hi_u32 v23, v9, v23
	v_add_nc_u32_e32 v9, v9, v23
	s_delay_alu instid0(VALU_DEP_1) | instskip(NEXT) | instid1(VALU_DEP_1)
	v_mul_hi_u32 v9, v22, v9
	v_mul_lo_u32 v23, v9, s8
	s_delay_alu instid0(VALU_DEP_1) | instskip(NEXT) | instid1(VALU_DEP_1)
	v_dual_sub_nc_u32 v22, v22, v23 :: v_dual_add_nc_u32 v23, 1, v9
	v_subrev_nc_u32_e32 v24, s8, v22
	v_cmp_le_u32_e32 vcc_lo, s8, v22
	s_delay_alu instid0(VALU_DEP_2) | instskip(NEXT) | instid1(VALU_DEP_1)
	v_dual_cndmask_b32 v22, v22, v24 :: v_dual_cndmask_b32 v9, v9, v23
	v_cmp_le_u32_e32 vcc_lo, s8, v22
	s_delay_alu instid0(VALU_DEP_2) | instskip(NEXT) | instid1(VALU_DEP_1)
	v_add_nc_u32_e32 v23, 1, v9
	v_cndmask_b32_e32 v24, v9, v23, vcc_lo
.LBB42_19:                              ;   in Loop: Header=BB42_15 Depth=3
	s_or_b32 exec_lo, exec_lo, s3
	s_mov_b32 s3, -1
	s_or_b32 s37, s37, exec_lo
	s_mov_b32 s20, exec_lo
                                        ; implicit-def: $vgpr26_vgpr27
	v_cmpx_lt_i64_e64 v[24:25], v[10:11]
	s_cbranch_execz .LBB42_14
; %bb.20:                               ;   in Loop: Header=BB42_15 Depth=3
	v_add_nc_u64_e32 v[26:27], 1, v[20:21]
	v_add_nc_u64_e32 v[18:19], 8, v[18:19]
	s_and_not1_b32 s37, s37, exec_lo
	s_delay_alu instid0(VALU_DEP_2)
	v_cmp_ge_i64_e32 vcc_lo, v[26:27], v[16:17]
	s_or_not1_b32 s3, vcc_lo, exec_lo
	s_branch .LBB42_14
.LBB42_21:                              ;   in Loop: Header=BB42_12 Depth=2
	s_or_b32 exec_lo, exec_lo, s35
	s_and_saveexec_b32 s3, s36
	s_delay_alu instid0(SALU_CYCLE_1)
	s_xor_b32 s3, exec_lo, s3
	s_cbranch_execz .LBB42_10
; %bb.22:                               ;   in Loop: Header=BB42_12 Depth=2
	v_min_i64 v[12:13], v[24:25], v[12:13]
	global_store_b64 v[14:15], v[20:21], off
	s_branch .LBB42_10
.LBB42_23:
	s_or_b32 exec_lo, exec_lo, s31
	s_branch .LBB42_25
.LBB42_24:
	v_mov_b64_e32 v[6:7], 0
.LBB42_25:
	v_cmp_gt_i64_e64 s2, s[4:5], s[12:13]
	v_cmp_eq_u32_e32 vcc_lo, 31, v0
	s_and_b32 s2, vcc_lo, s2
	s_delay_alu instid0(SALU_CYCLE_1)
	s_and_saveexec_b32 s3, s2
	s_cbranch_execz .LBB42_27
; %bb.26:
	s_wait_xcnt 0x0
	s_load_b32 s0, s[0:1], 0x48
	s_wait_kmcnt 0x0
	v_dual_mov_b32 v1, 0 :: v_dual_mov_b32 v0, s0
	s_lshl_b64 s[0:1], s[12:13], 3
	s_delay_alu instid0(SALU_CYCLE_1)
	s_add_nc_u64 s[0:1], s[16:17], s[0:1]
	s_clause 0x1
	global_store_b64 v1, v[0:1], s[16:17]
	global_store_b64 v1, v[6:7], s[0:1] offset:8
.LBB42_27:
	s_endpgm
	.section	.rodata,"a",@progbits
	.p2align	6, 0x0
	.amdhsa_kernel _ZN9rocsparseL25csr2bsr_nnz_65_inf_kernelILj32EllEEvT1_S1_S1_S1_S1_S1_21rocsparse_index_base_PKT0_PKS1_S2_PS3_S8_
		.amdhsa_group_segment_fixed_size 0
		.amdhsa_private_segment_fixed_size 0
		.amdhsa_kernarg_size 96
		.amdhsa_user_sgpr_count 2
		.amdhsa_user_sgpr_dispatch_ptr 0
		.amdhsa_user_sgpr_queue_ptr 0
		.amdhsa_user_sgpr_kernarg_segment_ptr 1
		.amdhsa_user_sgpr_dispatch_id 0
		.amdhsa_user_sgpr_kernarg_preload_length 0
		.amdhsa_user_sgpr_kernarg_preload_offset 0
		.amdhsa_user_sgpr_private_segment_size 0
		.amdhsa_wavefront_size32 1
		.amdhsa_uses_dynamic_stack 0
		.amdhsa_enable_private_segment 0
		.amdhsa_system_sgpr_workgroup_id_x 1
		.amdhsa_system_sgpr_workgroup_id_y 0
		.amdhsa_system_sgpr_workgroup_id_z 0
		.amdhsa_system_sgpr_workgroup_info 0
		.amdhsa_system_vgpr_workitem_id 0
		.amdhsa_next_free_vgpr 42
		.amdhsa_next_free_sgpr 48
		.amdhsa_named_barrier_count 0
		.amdhsa_reserve_vcc 1
		.amdhsa_float_round_mode_32 0
		.amdhsa_float_round_mode_16_64 0
		.amdhsa_float_denorm_mode_32 3
		.amdhsa_float_denorm_mode_16_64 3
		.amdhsa_fp16_overflow 0
		.amdhsa_memory_ordered 1
		.amdhsa_forward_progress 1
		.amdhsa_inst_pref_size 16
		.amdhsa_round_robin_scheduling 0
		.amdhsa_exception_fp_ieee_invalid_op 0
		.amdhsa_exception_fp_denorm_src 0
		.amdhsa_exception_fp_ieee_div_zero 0
		.amdhsa_exception_fp_ieee_overflow 0
		.amdhsa_exception_fp_ieee_underflow 0
		.amdhsa_exception_fp_ieee_inexact 0
		.amdhsa_exception_int_div_zero 0
	.end_amdhsa_kernel
	.section	.text._ZN9rocsparseL25csr2bsr_nnz_65_inf_kernelILj32EllEEvT1_S1_S1_S1_S1_S1_21rocsparse_index_base_PKT0_PKS1_S2_PS3_S8_,"axG",@progbits,_ZN9rocsparseL25csr2bsr_nnz_65_inf_kernelILj32EllEEvT1_S1_S1_S1_S1_S1_21rocsparse_index_base_PKT0_PKS1_S2_PS3_S8_,comdat
.Lfunc_end42:
	.size	_ZN9rocsparseL25csr2bsr_nnz_65_inf_kernelILj32EllEEvT1_S1_S1_S1_S1_S1_21rocsparse_index_base_PKT0_PKS1_S2_PS3_S8_, .Lfunc_end42-_ZN9rocsparseL25csr2bsr_nnz_65_inf_kernelILj32EllEEvT1_S1_S1_S1_S1_S1_21rocsparse_index_base_PKT0_PKS1_S2_PS3_S8_
                                        ; -- End function
	.set _ZN9rocsparseL25csr2bsr_nnz_65_inf_kernelILj32EllEEvT1_S1_S1_S1_S1_S1_21rocsparse_index_base_PKT0_PKS1_S2_PS3_S8_.num_vgpr, 42
	.set _ZN9rocsparseL25csr2bsr_nnz_65_inf_kernelILj32EllEEvT1_S1_S1_S1_S1_S1_21rocsparse_index_base_PKT0_PKS1_S2_PS3_S8_.num_agpr, 0
	.set _ZN9rocsparseL25csr2bsr_nnz_65_inf_kernelILj32EllEEvT1_S1_S1_S1_S1_S1_21rocsparse_index_base_PKT0_PKS1_S2_PS3_S8_.numbered_sgpr, 48
	.set _ZN9rocsparseL25csr2bsr_nnz_65_inf_kernelILj32EllEEvT1_S1_S1_S1_S1_S1_21rocsparse_index_base_PKT0_PKS1_S2_PS3_S8_.num_named_barrier, 0
	.set _ZN9rocsparseL25csr2bsr_nnz_65_inf_kernelILj32EllEEvT1_S1_S1_S1_S1_S1_21rocsparse_index_base_PKT0_PKS1_S2_PS3_S8_.private_seg_size, 0
	.set _ZN9rocsparseL25csr2bsr_nnz_65_inf_kernelILj32EllEEvT1_S1_S1_S1_S1_S1_21rocsparse_index_base_PKT0_PKS1_S2_PS3_S8_.uses_vcc, 1
	.set _ZN9rocsparseL25csr2bsr_nnz_65_inf_kernelILj32EllEEvT1_S1_S1_S1_S1_S1_21rocsparse_index_base_PKT0_PKS1_S2_PS3_S8_.uses_flat_scratch, 0
	.set _ZN9rocsparseL25csr2bsr_nnz_65_inf_kernelILj32EllEEvT1_S1_S1_S1_S1_S1_21rocsparse_index_base_PKT0_PKS1_S2_PS3_S8_.has_dyn_sized_stack, 0
	.set _ZN9rocsparseL25csr2bsr_nnz_65_inf_kernelILj32EllEEvT1_S1_S1_S1_S1_S1_21rocsparse_index_base_PKT0_PKS1_S2_PS3_S8_.has_recursion, 0
	.set _ZN9rocsparseL25csr2bsr_nnz_65_inf_kernelILj32EllEEvT1_S1_S1_S1_S1_S1_21rocsparse_index_base_PKT0_PKS1_S2_PS3_S8_.has_indirect_call, 0
	.section	.AMDGPU.csdata,"",@progbits
; Kernel info:
; codeLenInByte = 1932
; TotalNumSgprs: 50
; NumVgprs: 42
; ScratchSize: 0
; MemoryBound: 0
; FloatMode: 240
; IeeeMode: 1
; LDSByteSize: 0 bytes/workgroup (compile time only)
; SGPRBlocks: 0
; VGPRBlocks: 2
; NumSGPRsForWavesPerEU: 50
; NumVGPRsForWavesPerEU: 42
; NamedBarCnt: 0
; Occupancy: 16
; WaveLimiterHint : 0
; COMPUTE_PGM_RSRC2:SCRATCH_EN: 0
; COMPUTE_PGM_RSRC2:USER_SGPR: 2
; COMPUTE_PGM_RSRC2:TRAP_HANDLER: 0
; COMPUTE_PGM_RSRC2:TGID_X_EN: 1
; COMPUTE_PGM_RSRC2:TGID_Y_EN: 0
; COMPUTE_PGM_RSRC2:TGID_Z_EN: 0
; COMPUTE_PGM_RSRC2:TIDIG_COMP_CNT: 0
	.section	.text._ZN9rocsparseL36csr2bsr_nnz_compute_nnz_total_kernelILj1EllEEvT1_PKT0_PS2_,"axG",@progbits,_ZN9rocsparseL36csr2bsr_nnz_compute_nnz_total_kernelILj1EllEEvT1_PKT0_PS2_,comdat
	.globl	_ZN9rocsparseL36csr2bsr_nnz_compute_nnz_total_kernelILj1EllEEvT1_PKT0_PS2_ ; -- Begin function _ZN9rocsparseL36csr2bsr_nnz_compute_nnz_total_kernelILj1EllEEvT1_PKT0_PS2_
	.p2align	8
	.type	_ZN9rocsparseL36csr2bsr_nnz_compute_nnz_total_kernelILj1EllEEvT1_PKT0_PS2_,@function
_ZN9rocsparseL36csr2bsr_nnz_compute_nnz_total_kernelILj1EllEEvT1_PKT0_PS2_: ; @_ZN9rocsparseL36csr2bsr_nnz_compute_nnz_total_kernelILj1EllEEvT1_PKT0_PS2_
; %bb.0:
	s_bfe_u32 s2, ttmp6, 0x4000c
	s_and_b32 s3, ttmp6, 15
	s_add_co_i32 s2, s2, 1
	s_getreg_b32 s4, hwreg(HW_REG_IB_STS2, 6, 4)
	s_mul_i32 s2, ttmp9, s2
	s_delay_alu instid0(SALU_CYCLE_1) | instskip(SKIP_2) | instid1(SALU_CYCLE_1)
	s_add_co_i32 s3, s3, s2
	s_cmp_eq_u32 s4, 0
	s_cselect_b32 s2, ttmp9, s3
	s_sub_co_i32 s2, 0, s2
	s_delay_alu instid0(SALU_CYCLE_1)
	s_cmp_lg_u32 0, s2
	s_cbranch_scc1 .LBB43_2
; %bb.1:
	s_clause 0x1
	s_load_b128 s[4:7], s[0:1], 0x0
	s_load_b64 s[2:3], s[0:1], 0x10
	v_mov_b32_e32 v2, 0
	s_wait_kmcnt 0x0
	s_lshl_b64 s[0:1], s[4:5], 3
	s_delay_alu instid0(SALU_CYCLE_1)
	s_add_nc_u64 s[0:1], s[6:7], s[0:1]
	s_clause 0x1
	s_load_b64 s[4:5], s[0:1], 0x0
	s_load_b64 s[8:9], s[6:7], 0x0
	s_wait_kmcnt 0x0
	s_sub_nc_u64 s[0:1], s[4:5], s[8:9]
	s_delay_alu instid0(SALU_CYCLE_1)
	v_mov_b64_e32 v[0:1], s[0:1]
	global_store_b64 v2, v[0:1], s[2:3]
.LBB43_2:
	s_endpgm
	.section	.rodata,"a",@progbits
	.p2align	6, 0x0
	.amdhsa_kernel _ZN9rocsparseL36csr2bsr_nnz_compute_nnz_total_kernelILj1EllEEvT1_PKT0_PS2_
		.amdhsa_group_segment_fixed_size 0
		.amdhsa_private_segment_fixed_size 0
		.amdhsa_kernarg_size 24
		.amdhsa_user_sgpr_count 2
		.amdhsa_user_sgpr_dispatch_ptr 0
		.amdhsa_user_sgpr_queue_ptr 0
		.amdhsa_user_sgpr_kernarg_segment_ptr 1
		.amdhsa_user_sgpr_dispatch_id 0
		.amdhsa_user_sgpr_kernarg_preload_length 0
		.amdhsa_user_sgpr_kernarg_preload_offset 0
		.amdhsa_user_sgpr_private_segment_size 0
		.amdhsa_wavefront_size32 1
		.amdhsa_uses_dynamic_stack 0
		.amdhsa_enable_private_segment 0
		.amdhsa_system_sgpr_workgroup_id_x 1
		.amdhsa_system_sgpr_workgroup_id_y 0
		.amdhsa_system_sgpr_workgroup_id_z 0
		.amdhsa_system_sgpr_workgroup_info 0
		.amdhsa_system_vgpr_workitem_id 0
		.amdhsa_next_free_vgpr 3
		.amdhsa_next_free_sgpr 10
		.amdhsa_named_barrier_count 0
		.amdhsa_reserve_vcc 0
		.amdhsa_float_round_mode_32 0
		.amdhsa_float_round_mode_16_64 0
		.amdhsa_float_denorm_mode_32 3
		.amdhsa_float_denorm_mode_16_64 3
		.amdhsa_fp16_overflow 0
		.amdhsa_memory_ordered 1
		.amdhsa_forward_progress 1
		.amdhsa_inst_pref_size 2
		.amdhsa_round_robin_scheduling 0
		.amdhsa_exception_fp_ieee_invalid_op 0
		.amdhsa_exception_fp_denorm_src 0
		.amdhsa_exception_fp_ieee_div_zero 0
		.amdhsa_exception_fp_ieee_overflow 0
		.amdhsa_exception_fp_ieee_underflow 0
		.amdhsa_exception_fp_ieee_inexact 0
		.amdhsa_exception_int_div_zero 0
	.end_amdhsa_kernel
	.section	.text._ZN9rocsparseL36csr2bsr_nnz_compute_nnz_total_kernelILj1EllEEvT1_PKT0_PS2_,"axG",@progbits,_ZN9rocsparseL36csr2bsr_nnz_compute_nnz_total_kernelILj1EllEEvT1_PKT0_PS2_,comdat
.Lfunc_end43:
	.size	_ZN9rocsparseL36csr2bsr_nnz_compute_nnz_total_kernelILj1EllEEvT1_PKT0_PS2_, .Lfunc_end43-_ZN9rocsparseL36csr2bsr_nnz_compute_nnz_total_kernelILj1EllEEvT1_PKT0_PS2_
                                        ; -- End function
	.set _ZN9rocsparseL36csr2bsr_nnz_compute_nnz_total_kernelILj1EllEEvT1_PKT0_PS2_.num_vgpr, 3
	.set _ZN9rocsparseL36csr2bsr_nnz_compute_nnz_total_kernelILj1EllEEvT1_PKT0_PS2_.num_agpr, 0
	.set _ZN9rocsparseL36csr2bsr_nnz_compute_nnz_total_kernelILj1EllEEvT1_PKT0_PS2_.numbered_sgpr, 10
	.set _ZN9rocsparseL36csr2bsr_nnz_compute_nnz_total_kernelILj1EllEEvT1_PKT0_PS2_.num_named_barrier, 0
	.set _ZN9rocsparseL36csr2bsr_nnz_compute_nnz_total_kernelILj1EllEEvT1_PKT0_PS2_.private_seg_size, 0
	.set _ZN9rocsparseL36csr2bsr_nnz_compute_nnz_total_kernelILj1EllEEvT1_PKT0_PS2_.uses_vcc, 0
	.set _ZN9rocsparseL36csr2bsr_nnz_compute_nnz_total_kernelILj1EllEEvT1_PKT0_PS2_.uses_flat_scratch, 0
	.set _ZN9rocsparseL36csr2bsr_nnz_compute_nnz_total_kernelILj1EllEEvT1_PKT0_PS2_.has_dyn_sized_stack, 0
	.set _ZN9rocsparseL36csr2bsr_nnz_compute_nnz_total_kernelILj1EllEEvT1_PKT0_PS2_.has_recursion, 0
	.set _ZN9rocsparseL36csr2bsr_nnz_compute_nnz_total_kernelILj1EllEEvT1_PKT0_PS2_.has_indirect_call, 0
	.section	.AMDGPU.csdata,"",@progbits
; Kernel info:
; codeLenInByte = 148
; TotalNumSgprs: 10
; NumVgprs: 3
; ScratchSize: 0
; MemoryBound: 0
; FloatMode: 240
; IeeeMode: 1
; LDSByteSize: 0 bytes/workgroup (compile time only)
; SGPRBlocks: 0
; VGPRBlocks: 0
; NumSGPRsForWavesPerEU: 10
; NumVGPRsForWavesPerEU: 3
; NamedBarCnt: 0
; Occupancy: 16
; WaveLimiterHint : 0
; COMPUTE_PGM_RSRC2:SCRATCH_EN: 0
; COMPUTE_PGM_RSRC2:USER_SGPR: 2
; COMPUTE_PGM_RSRC2:TRAP_HANDLER: 0
; COMPUTE_PGM_RSRC2:TGID_X_EN: 1
; COMPUTE_PGM_RSRC2:TGID_Y_EN: 0
; COMPUTE_PGM_RSRC2:TGID_Z_EN: 0
; COMPUTE_PGM_RSRC2:TIDIG_COMP_CNT: 0
	.section	.AMDGPU.gpr_maximums,"",@progbits
	.set amdgpu.max_num_vgpr, 0
	.set amdgpu.max_num_agpr, 0
	.set amdgpu.max_num_sgpr, 0
	.section	.AMDGPU.csdata,"",@progbits
	.type	__hip_cuid_21c820c447a2630c,@object ; @__hip_cuid_21c820c447a2630c
	.section	.bss,"aw",@nobits
	.globl	__hip_cuid_21c820c447a2630c
__hip_cuid_21c820c447a2630c:
	.byte	0                               ; 0x0
	.size	__hip_cuid_21c820c447a2630c, 1

	.ident	"AMD clang version 22.0.0git (https://github.com/RadeonOpenCompute/llvm-project roc-7.2.4 26084 f58b06dce1f9c15707c5f808fd002e18c2accf7e)"
	.section	".note.GNU-stack","",@progbits
	.addrsig
	.addrsig_sym __hip_cuid_21c820c447a2630c
	.amdgpu_metadata
---
amdhsa.kernels:
  - .args:
      - .offset:         0
        .size:           4
        .value_kind:     by_value
      - .offset:         4
        .size:           4
        .value_kind:     by_value
      - .actual_access:  read_only
        .address_space:  global
        .offset:         8
        .size:           8
        .value_kind:     global_buffer
      - .offset:         16
        .size:           4
        .value_kind:     by_value
      - .actual_access:  write_only
        .address_space:  global
        .offset:         24
        .size:           8
        .value_kind:     global_buffer
      - .actual_access:  write_only
        .address_space:  global
        .offset:         32
        .size:           8
        .value_kind:     global_buffer
      - .offset:         40
        .size:           4
        .value_kind:     hidden_block_count_x
      - .offset:         44
        .size:           4
        .value_kind:     hidden_block_count_y
      - .offset:         48
        .size:           4
        .value_kind:     hidden_block_count_z
      - .offset:         52
        .size:           2
        .value_kind:     hidden_group_size_x
      - .offset:         54
        .size:           2
        .value_kind:     hidden_group_size_y
      - .offset:         56
        .size:           2
        .value_kind:     hidden_group_size_z
      - .offset:         58
        .size:           2
        .value_kind:     hidden_remainder_x
      - .offset:         60
        .size:           2
        .value_kind:     hidden_remainder_y
      - .offset:         62
        .size:           2
        .value_kind:     hidden_remainder_z
      - .offset:         80
        .size:           8
        .value_kind:     hidden_global_offset_x
      - .offset:         88
        .size:           8
        .value_kind:     hidden_global_offset_y
      - .offset:         96
        .size:           8
        .value_kind:     hidden_global_offset_z
      - .offset:         104
        .size:           2
        .value_kind:     hidden_grid_dims
    .group_segment_fixed_size: 0
    .kernarg_segment_align: 8
    .kernarg_segment_size: 296
    .language:       OpenCL C
    .language_version:
      - 2
      - 0
    .max_flat_workgroup_size: 256
    .name:           _ZN9rocsparseL39csr2bsr_nnz_block_dim_equals_one_kernelILj256EiiEEvT1_21rocsparse_index_base_PKT0_S2_PS3_S6_
    .private_segment_fixed_size: 0
    .sgpr_count:     10
    .sgpr_spill_count: 0
    .symbol:         _ZN9rocsparseL39csr2bsr_nnz_block_dim_equals_one_kernelILj256EiiEEvT1_21rocsparse_index_base_PKT0_S2_PS3_S6_.kd
    .uniform_work_group_size: 1
    .uses_dynamic_stack: false
    .vgpr_count:     2
    .vgpr_spill_count: 0
    .wavefront_size: 32
  - .args:
      - .offset:         0
        .size:           4
        .value_kind:     by_value
      - .offset:         4
        .size:           4
        .value_kind:     by_value
      - .actual_access:  read_only
        .address_space:  global
        .offset:         8
        .size:           8
        .value_kind:     global_buffer
      - .offset:         16
        .size:           4
        .value_kind:     by_value
      - .actual_access:  write_only
        .address_space:  global
        .offset:         24
        .size:           8
        .value_kind:     global_buffer
    .group_segment_fixed_size: 0
    .kernarg_segment_align: 8
    .kernarg_segment_size: 32
    .language:       OpenCL C
    .language_version:
      - 2
      - 0
    .max_flat_workgroup_size: 256
    .name:           _ZN9rocsparseL39csr2bsr_nnz_block_dim_equals_one_kernelILj256EiiEEvT1_21rocsparse_index_base_PKT0_S2_PS3_
    .private_segment_fixed_size: 0
    .sgpr_count:     12
    .sgpr_spill_count: 0
    .symbol:         _ZN9rocsparseL39csr2bsr_nnz_block_dim_equals_one_kernelILj256EiiEEvT1_21rocsparse_index_base_PKT0_S2_PS3_.kd
    .uniform_work_group_size: 1
    .uses_dynamic_stack: false
    .vgpr_count:     2
    .vgpr_spill_count: 0
    .wavefront_size: 32
  - .args:
      - .offset:         0
        .size:           4
        .value_kind:     by_value
      - .offset:         4
        .size:           4
        .value_kind:     by_value
      - .offset:         8
        .size:           4
        .value_kind:     by_value
      - .offset:         12
        .size:           4
        .value_kind:     by_value
      - .offset:         16
        .size:           4
        .value_kind:     by_value
      - .offset:         20
        .size:           4
        .value_kind:     by_value
      - .actual_access:  read_only
        .address_space:  global
        .offset:         24
        .size:           8
        .value_kind:     global_buffer
      - .actual_access:  read_only
        .address_space:  global
        .offset:         32
        .size:           8
        .value_kind:     global_buffer
      - .offset:         40
        .size:           4
        .value_kind:     by_value
      - .actual_access:  write_only
        .address_space:  global
        .offset:         48
        .size:           8
        .value_kind:     global_buffer
    .group_segment_fixed_size: 80
    .kernarg_segment_align: 8
    .kernarg_segment_size: 56
    .language:       OpenCL C
    .language_version:
      - 2
      - 0
    .max_flat_workgroup_size: 256
    .name:           _ZN9rocsparseL46csr2bsr_nnz_wavefront_per_row_multipass_kernelILj256ELj16ELj4EiiEEvT3_S1_S1_S1_S1_21rocsparse_index_base_PKT2_PKS1_S2_PS3_
    .private_segment_fixed_size: 0
    .sgpr_count:     19
    .sgpr_spill_count: 0
    .symbol:         _ZN9rocsparseL46csr2bsr_nnz_wavefront_per_row_multipass_kernelILj256ELj16ELj4EiiEEvT3_S1_S1_S1_S1_21rocsparse_index_base_PKT2_PKS1_S2_PS3_.kd
    .uniform_work_group_size: 1
    .uses_dynamic_stack: false
    .vgpr_count:     23
    .vgpr_spill_count: 0
    .wavefront_size: 32
  - .args:
      - .offset:         0
        .size:           4
        .value_kind:     by_value
      - .offset:         4
        .size:           4
        .value_kind:     by_value
      - .offset:         8
        .size:           4
        .value_kind:     by_value
      - .offset:         12
        .size:           4
        .value_kind:     by_value
      - .offset:         16
        .size:           4
        .value_kind:     by_value
      - .offset:         20
        .size:           4
        .value_kind:     by_value
      - .actual_access:  read_only
        .address_space:  global
        .offset:         24
        .size:           8
        .value_kind:     global_buffer
      - .actual_access:  read_only
        .address_space:  global
        .offset:         32
        .size:           8
        .value_kind:     global_buffer
      - .offset:         40
        .size:           4
        .value_kind:     by_value
      - .actual_access:  write_only
        .address_space:  global
        .offset:         48
        .size:           8
        .value_kind:     global_buffer
    .group_segment_fixed_size: 20
    .kernarg_segment_align: 8
    .kernarg_segment_size: 56
    .language:       OpenCL C
    .language_version:
      - 2
      - 0
    .max_flat_workgroup_size: 256
    .name:           _ZN9rocsparseL46csr2bsr_nnz_wavefront_per_row_multipass_kernelILj256ELj64ELj8EiiEEvT3_S1_S1_S1_S1_21rocsparse_index_base_PKT2_PKS1_S2_PS3_
    .private_segment_fixed_size: 0
    .sgpr_count:     19
    .sgpr_spill_count: 0
    .symbol:         _ZN9rocsparseL46csr2bsr_nnz_wavefront_per_row_multipass_kernelILj256ELj64ELj8EiiEEvT3_S1_S1_S1_S1_21rocsparse_index_base_PKT2_PKS1_S2_PS3_.kd
    .uniform_work_group_size: 1
    .uses_dynamic_stack: false
    .vgpr_count:     25
    .vgpr_spill_count: 0
    .wavefront_size: 32
  - .args:
      - .offset:         0
        .size:           4
        .value_kind:     by_value
      - .offset:         4
        .size:           4
        .value_kind:     by_value
      - .offset:         8
        .size:           4
        .value_kind:     by_value
      - .offset:         12
        .size:           4
        .value_kind:     by_value
      - .offset:         16
        .size:           4
        .value_kind:     by_value
      - .offset:         20
        .size:           4
        .value_kind:     by_value
      - .actual_access:  read_only
        .address_space:  global
        .offset:         24
        .size:           8
        .value_kind:     global_buffer
      - .actual_access:  read_only
        .address_space:  global
        .offset:         32
        .size:           8
        .value_kind:     global_buffer
      - .offset:         40
        .size:           4
        .value_kind:     by_value
      - .actual_access:  write_only
        .address_space:  global
        .offset:         48
        .size:           8
        .value_kind:     global_buffer
    .group_segment_fixed_size: 40
    .kernarg_segment_align: 8
    .kernarg_segment_size: 56
    .language:       OpenCL C
    .language_version:
      - 2
      - 0
    .max_flat_workgroup_size: 256
    .name:           _ZN9rocsparseL46csr2bsr_nnz_wavefront_per_row_multipass_kernelILj256ELj32ELj8EiiEEvT3_S1_S1_S1_S1_21rocsparse_index_base_PKT2_PKS1_S2_PS3_
    .private_segment_fixed_size: 0
    .sgpr_count:     19
    .sgpr_spill_count: 0
    .symbol:         _ZN9rocsparseL46csr2bsr_nnz_wavefront_per_row_multipass_kernelILj256ELj32ELj8EiiEEvT3_S1_S1_S1_S1_21rocsparse_index_base_PKT2_PKS1_S2_PS3_.kd
    .uniform_work_group_size: 1
    .uses_dynamic_stack: false
    .vgpr_count:     24
    .vgpr_spill_count: 0
    .wavefront_size: 32
  - .args:
      - .offset:         0
        .size:           4
        .value_kind:     by_value
      - .offset:         4
        .size:           4
        .value_kind:     by_value
      - .offset:         8
        .size:           4
        .value_kind:     by_value
      - .offset:         12
        .size:           4
        .value_kind:     by_value
      - .offset:         16
        .size:           4
        .value_kind:     by_value
      - .offset:         20
        .size:           4
        .value_kind:     by_value
      - .actual_access:  read_only
        .address_space:  global
        .offset:         24
        .size:           8
        .value_kind:     global_buffer
      - .actual_access:  read_only
        .address_space:  global
        .offset:         32
        .size:           8
        .value_kind:     global_buffer
      - .offset:         40
        .size:           4
        .value_kind:     by_value
      - .actual_access:  write_only
        .address_space:  global
        .offset:         48
        .size:           8
        .value_kind:     global_buffer
    .group_segment_fixed_size: 20
    .kernarg_segment_align: 8
    .kernarg_segment_size: 56
    .language:       OpenCL C
    .language_version:
      - 2
      - 0
    .max_flat_workgroup_size: 256
    .name:           _ZN9rocsparseL46csr2bsr_nnz_wavefront_per_row_multipass_kernelILj256ELj64ELj16EiiEEvT3_S1_S1_S1_S1_21rocsparse_index_base_PKT2_PKS1_S2_PS3_
    .private_segment_fixed_size: 0
    .sgpr_count:     19
    .sgpr_spill_count: 0
    .symbol:         _ZN9rocsparseL46csr2bsr_nnz_wavefront_per_row_multipass_kernelILj256ELj64ELj16EiiEEvT3_S1_S1_S1_S1_21rocsparse_index_base_PKT2_PKS1_S2_PS3_.kd
    .uniform_work_group_size: 1
    .uses_dynamic_stack: false
    .vgpr_count:     25
    .vgpr_spill_count: 0
    .wavefront_size: 32
  - .args:
      - .offset:         0
        .size:           4
        .value_kind:     by_value
      - .offset:         4
        .size:           4
        .value_kind:     by_value
      - .offset:         8
        .size:           4
        .value_kind:     by_value
      - .offset:         12
        .size:           4
        .value_kind:     by_value
      - .offset:         16
        .size:           4
        .value_kind:     by_value
      - .offset:         20
        .size:           4
        .value_kind:     by_value
      - .actual_access:  read_only
        .address_space:  global
        .offset:         24
        .size:           8
        .value_kind:     global_buffer
      - .actual_access:  read_only
        .address_space:  global
        .offset:         32
        .size:           8
        .value_kind:     global_buffer
      - .offset:         40
        .size:           4
        .value_kind:     by_value
      - .actual_access:  write_only
        .address_space:  global
        .offset:         48
        .size:           8
        .value_kind:     global_buffer
    .group_segment_fixed_size: 40
    .kernarg_segment_align: 8
    .kernarg_segment_size: 56
    .language:       OpenCL C
    .language_version:
      - 2
      - 0
    .max_flat_workgroup_size: 256
    .name:           _ZN9rocsparseL46csr2bsr_nnz_wavefront_per_row_multipass_kernelILj256ELj32ELj16EiiEEvT3_S1_S1_S1_S1_21rocsparse_index_base_PKT2_PKS1_S2_PS3_
    .private_segment_fixed_size: 0
    .sgpr_count:     19
    .sgpr_spill_count: 0
    .symbol:         _ZN9rocsparseL46csr2bsr_nnz_wavefront_per_row_multipass_kernelILj256ELj32ELj16EiiEEvT3_S1_S1_S1_S1_21rocsparse_index_base_PKT2_PKS1_S2_PS3_.kd
    .uniform_work_group_size: 1
    .uses_dynamic_stack: false
    .vgpr_count:     24
    .vgpr_spill_count: 0
    .wavefront_size: 32
  - .args:
      - .offset:         0
        .size:           4
        .value_kind:     by_value
      - .offset:         4
        .size:           4
        .value_kind:     by_value
      - .offset:         8
        .size:           4
        .value_kind:     by_value
      - .offset:         12
        .size:           4
        .value_kind:     by_value
      - .offset:         16
        .size:           4
        .value_kind:     by_value
      - .offset:         20
        .size:           4
        .value_kind:     by_value
      - .actual_access:  read_only
        .address_space:  global
        .offset:         24
        .size:           8
        .value_kind:     global_buffer
      - .actual_access:  read_only
        .address_space:  global
        .offset:         32
        .size:           8
        .value_kind:     global_buffer
      - .offset:         40
        .size:           4
        .value_kind:     by_value
      - .actual_access:  write_only
        .address_space:  global
        .offset:         48
        .size:           8
        .value_kind:     global_buffer
    .group_segment_fixed_size: 1032
    .kernarg_segment_align: 8
    .kernarg_segment_size: 56
    .language:       OpenCL C
    .language_version:
      - 2
      - 0
    .max_flat_workgroup_size: 256
    .name:           _ZN9rocsparseL42csr2bsr_nnz_block_per_row_multipass_kernelILj256ELj32EiiEEvT2_S1_S1_S1_S1_21rocsparse_index_base_PKT1_PKS1_S2_PS3_
    .private_segment_fixed_size: 0
    .sgpr_count:     25
    .sgpr_spill_count: 0
    .symbol:         _ZN9rocsparseL42csr2bsr_nnz_block_per_row_multipass_kernelILj256ELj32EiiEEvT2_S1_S1_S1_S1_21rocsparse_index_base_PKT1_PKS1_S2_PS3_.kd
    .uniform_work_group_size: 1
    .uses_dynamic_stack: false
    .vgpr_count:     19
    .vgpr_spill_count: 0
    .wavefront_size: 32
  - .args:
      - .offset:         0
        .size:           4
        .value_kind:     by_value
      - .offset:         4
        .size:           4
        .value_kind:     by_value
      - .offset:         8
        .size:           4
        .value_kind:     by_value
      - .offset:         12
        .size:           4
        .value_kind:     by_value
      - .offset:         16
        .size:           4
        .value_kind:     by_value
      - .offset:         20
        .size:           4
        .value_kind:     by_value
      - .actual_access:  read_only
        .address_space:  global
        .offset:         24
        .size:           8
        .value_kind:     global_buffer
      - .actual_access:  read_only
        .address_space:  global
        .offset:         32
        .size:           8
        .value_kind:     global_buffer
      - .offset:         40
        .size:           4
        .value_kind:     by_value
      - .actual_access:  write_only
        .address_space:  global
        .offset:         48
        .size:           8
        .value_kind:     global_buffer
    .group_segment_fixed_size: 1032
    .kernarg_segment_align: 8
    .kernarg_segment_size: 56
    .language:       OpenCL C
    .language_version:
      - 2
      - 0
    .max_flat_workgroup_size: 256
    .name:           _ZN9rocsparseL42csr2bsr_nnz_block_per_row_multipass_kernelILj256ELj64EiiEEvT2_S1_S1_S1_S1_21rocsparse_index_base_PKT1_PKS1_S2_PS3_
    .private_segment_fixed_size: 0
    .sgpr_count:     25
    .sgpr_spill_count: 0
    .symbol:         _ZN9rocsparseL42csr2bsr_nnz_block_per_row_multipass_kernelILj256ELj64EiiEEvT2_S1_S1_S1_S1_21rocsparse_index_base_PKT1_PKS1_S2_PS3_.kd
    .uniform_work_group_size: 1
    .uses_dynamic_stack: false
    .vgpr_count:     18
    .vgpr_spill_count: 0
    .wavefront_size: 32
  - .args:
      - .offset:         0
        .size:           4
        .value_kind:     by_value
      - .offset:         4
        .size:           4
        .value_kind:     by_value
      - .offset:         8
        .size:           4
        .value_kind:     by_value
      - .offset:         12
        .size:           4
        .value_kind:     by_value
      - .offset:         16
        .size:           4
        .value_kind:     by_value
      - .offset:         20
        .size:           4
        .value_kind:     by_value
      - .offset:         24
        .size:           4
        .value_kind:     by_value
      - .actual_access:  read_only
        .address_space:  global
        .offset:         32
        .size:           8
        .value_kind:     global_buffer
      - .actual_access:  read_only
        .address_space:  global
        .offset:         40
        .size:           8
        .value_kind:     global_buffer
      - .offset:         48
        .size:           4
        .value_kind:     by_value
      - .actual_access:  write_only
        .address_space:  global
        .offset:         56
        .size:           8
        .value_kind:     global_buffer
      - .address_space:  global
        .offset:         64
        .size:           8
        .value_kind:     global_buffer
    .group_segment_fixed_size: 0
    .kernarg_segment_align: 8
    .kernarg_segment_size: 72
    .language:       OpenCL C
    .language_version:
      - 2
      - 0
    .max_flat_workgroup_size: 32
    .name:           _ZN9rocsparseL25csr2bsr_nnz_65_inf_kernelILj32EiiEEvT1_S1_S1_S1_S1_S1_21rocsparse_index_base_PKT0_PKS1_S2_PS3_S8_
    .private_segment_fixed_size: 0
    .sgpr_count:     29
    .sgpr_spill_count: 0
    .symbol:         _ZN9rocsparseL25csr2bsr_nnz_65_inf_kernelILj32EiiEEvT1_S1_S1_S1_S1_S1_21rocsparse_index_base_PKT0_PKS1_S2_PS3_S8_.kd
    .uniform_work_group_size: 1
    .uses_dynamic_stack: false
    .vgpr_count:     26
    .vgpr_spill_count: 0
    .wavefront_size: 32
  - .args:
      - .offset:         0
        .size:           4
        .value_kind:     by_value
      - .actual_access:  read_only
        .address_space:  global
        .offset:         8
        .size:           8
        .value_kind:     global_buffer
      - .actual_access:  write_only
        .address_space:  global
        .offset:         16
        .size:           8
        .value_kind:     global_buffer
    .group_segment_fixed_size: 0
    .kernarg_segment_align: 8
    .kernarg_segment_size: 24
    .language:       OpenCL C
    .language_version:
      - 2
      - 0
    .max_flat_workgroup_size: 1
    .name:           _ZN9rocsparseL36csr2bsr_nnz_compute_nnz_total_kernelILj1EiiEEvT1_PKT0_PS2_
    .private_segment_fixed_size: 0
    .sgpr_count:     8
    .sgpr_spill_count: 0
    .symbol:         _ZN9rocsparseL36csr2bsr_nnz_compute_nnz_total_kernelILj1EiiEEvT1_PKT0_PS2_.kd
    .uniform_work_group_size: 1
    .uses_dynamic_stack: false
    .vgpr_count:     2
    .vgpr_spill_count: 0
    .wavefront_size: 32
  - .args:
      - .offset:         0
        .size:           4
        .value_kind:     by_value
      - .offset:         4
        .size:           4
        .value_kind:     by_value
      - .actual_access:  read_only
        .address_space:  global
        .offset:         8
        .size:           8
        .value_kind:     global_buffer
      - .offset:         16
        .size:           4
        .value_kind:     by_value
      - .actual_access:  write_only
        .address_space:  global
        .offset:         24
        .size:           8
        .value_kind:     global_buffer
      - .actual_access:  write_only
        .address_space:  global
        .offset:         32
        .size:           8
        .value_kind:     global_buffer
      - .offset:         40
        .size:           4
        .value_kind:     hidden_block_count_x
      - .offset:         44
        .size:           4
        .value_kind:     hidden_block_count_y
      - .offset:         48
        .size:           4
        .value_kind:     hidden_block_count_z
      - .offset:         52
        .size:           2
        .value_kind:     hidden_group_size_x
      - .offset:         54
        .size:           2
        .value_kind:     hidden_group_size_y
      - .offset:         56
        .size:           2
        .value_kind:     hidden_group_size_z
      - .offset:         58
        .size:           2
        .value_kind:     hidden_remainder_x
      - .offset:         60
        .size:           2
        .value_kind:     hidden_remainder_y
      - .offset:         62
        .size:           2
        .value_kind:     hidden_remainder_z
      - .offset:         80
        .size:           8
        .value_kind:     hidden_global_offset_x
      - .offset:         88
        .size:           8
        .value_kind:     hidden_global_offset_y
      - .offset:         96
        .size:           8
        .value_kind:     hidden_global_offset_z
      - .offset:         104
        .size:           2
        .value_kind:     hidden_grid_dims
    .group_segment_fixed_size: 0
    .kernarg_segment_align: 8
    .kernarg_segment_size: 296
    .language:       OpenCL C
    .language_version:
      - 2
      - 0
    .max_flat_workgroup_size: 256
    .name:           _ZN9rocsparseL39csr2bsr_nnz_block_dim_equals_one_kernelILj256EliEEvT1_21rocsparse_index_base_PKT0_S2_PS3_S6_
    .private_segment_fixed_size: 0
    .sgpr_count:     14
    .sgpr_spill_count: 0
    .symbol:         _ZN9rocsparseL39csr2bsr_nnz_block_dim_equals_one_kernelILj256EliEEvT1_21rocsparse_index_base_PKT0_S2_PS3_S6_.kd
    .uniform_work_group_size: 1
    .uses_dynamic_stack: false
    .vgpr_count:     4
    .vgpr_spill_count: 0
    .wavefront_size: 32
  - .args:
      - .offset:         0
        .size:           4
        .value_kind:     by_value
      - .offset:         4
        .size:           4
        .value_kind:     by_value
      - .actual_access:  read_only
        .address_space:  global
        .offset:         8
        .size:           8
        .value_kind:     global_buffer
      - .offset:         16
        .size:           4
        .value_kind:     by_value
      - .actual_access:  write_only
        .address_space:  global
        .offset:         24
        .size:           8
        .value_kind:     global_buffer
    .group_segment_fixed_size: 0
    .kernarg_segment_align: 8
    .kernarg_segment_size: 32
    .language:       OpenCL C
    .language_version:
      - 2
      - 0
    .max_flat_workgroup_size: 256
    .name:           _ZN9rocsparseL39csr2bsr_nnz_block_dim_equals_one_kernelILj256EliEEvT1_21rocsparse_index_base_PKT0_S2_PS3_
    .private_segment_fixed_size: 0
    .sgpr_count:     13
    .sgpr_spill_count: 0
    .symbol:         _ZN9rocsparseL39csr2bsr_nnz_block_dim_equals_one_kernelILj256EliEEvT1_21rocsparse_index_base_PKT0_S2_PS3_.kd
    .uniform_work_group_size: 1
    .uses_dynamic_stack: false
    .vgpr_count:     4
    .vgpr_spill_count: 0
    .wavefront_size: 32
  - .args:
      - .offset:         0
        .size:           4
        .value_kind:     by_value
      - .offset:         4
        .size:           4
        .value_kind:     by_value
      - .offset:         8
        .size:           4
        .value_kind:     by_value
      - .offset:         12
        .size:           4
        .value_kind:     by_value
      - .offset:         16
        .size:           4
        .value_kind:     by_value
      - .offset:         20
        .size:           4
        .value_kind:     by_value
      - .actual_access:  read_only
        .address_space:  global
        .offset:         24
        .size:           8
        .value_kind:     global_buffer
      - .actual_access:  read_only
        .address_space:  global
        .offset:         32
        .size:           8
        .value_kind:     global_buffer
      - .offset:         40
        .size:           4
        .value_kind:     by_value
      - .actual_access:  write_only
        .address_space:  global
        .offset:         48
        .size:           8
        .value_kind:     global_buffer
    .group_segment_fixed_size: 80
    .kernarg_segment_align: 8
    .kernarg_segment_size: 56
    .language:       OpenCL C
    .language_version:
      - 2
      - 0
    .max_flat_workgroup_size: 256
    .name:           _ZN9rocsparseL46csr2bsr_nnz_wavefront_per_row_multipass_kernelILj256ELj16ELj4EliEEvT3_S1_S1_S1_S1_21rocsparse_index_base_PKT2_PKS1_S2_PS3_
    .private_segment_fixed_size: 0
    .sgpr_count:     19
    .sgpr_spill_count: 0
    .symbol:         _ZN9rocsparseL46csr2bsr_nnz_wavefront_per_row_multipass_kernelILj256ELj16ELj4EliEEvT3_S1_S1_S1_S1_21rocsparse_index_base_PKT2_PKS1_S2_PS3_.kd
    .uniform_work_group_size: 1
    .uses_dynamic_stack: false
    .vgpr_count:     30
    .vgpr_spill_count: 0
    .wavefront_size: 32
  - .args:
      - .offset:         0
        .size:           4
        .value_kind:     by_value
      - .offset:         4
        .size:           4
        .value_kind:     by_value
      - .offset:         8
        .size:           4
        .value_kind:     by_value
      - .offset:         12
        .size:           4
        .value_kind:     by_value
      - .offset:         16
        .size:           4
        .value_kind:     by_value
      - .offset:         20
        .size:           4
        .value_kind:     by_value
      - .actual_access:  read_only
        .address_space:  global
        .offset:         24
        .size:           8
        .value_kind:     global_buffer
      - .actual_access:  read_only
        .address_space:  global
        .offset:         32
        .size:           8
        .value_kind:     global_buffer
      - .offset:         40
        .size:           4
        .value_kind:     by_value
      - .actual_access:  write_only
        .address_space:  global
        .offset:         48
        .size:           8
        .value_kind:     global_buffer
    .group_segment_fixed_size: 20
    .kernarg_segment_align: 8
    .kernarg_segment_size: 56
    .language:       OpenCL C
    .language_version:
      - 2
      - 0
    .max_flat_workgroup_size: 256
    .name:           _ZN9rocsparseL46csr2bsr_nnz_wavefront_per_row_multipass_kernelILj256ELj64ELj8EliEEvT3_S1_S1_S1_S1_21rocsparse_index_base_PKT2_PKS1_S2_PS3_
    .private_segment_fixed_size: 0
    .sgpr_count:     19
    .sgpr_spill_count: 0
    .symbol:         _ZN9rocsparseL46csr2bsr_nnz_wavefront_per_row_multipass_kernelILj256ELj64ELj8EliEEvT3_S1_S1_S1_S1_21rocsparse_index_base_PKT2_PKS1_S2_PS3_.kd
    .uniform_work_group_size: 1
    .uses_dynamic_stack: false
    .vgpr_count:     32
    .vgpr_spill_count: 0
    .wavefront_size: 32
  - .args:
      - .offset:         0
        .size:           4
        .value_kind:     by_value
      - .offset:         4
        .size:           4
        .value_kind:     by_value
      - .offset:         8
        .size:           4
        .value_kind:     by_value
      - .offset:         12
        .size:           4
        .value_kind:     by_value
      - .offset:         16
        .size:           4
        .value_kind:     by_value
      - .offset:         20
        .size:           4
        .value_kind:     by_value
      - .actual_access:  read_only
        .address_space:  global
        .offset:         24
        .size:           8
        .value_kind:     global_buffer
      - .actual_access:  read_only
        .address_space:  global
        .offset:         32
        .size:           8
        .value_kind:     global_buffer
      - .offset:         40
        .size:           4
        .value_kind:     by_value
      - .actual_access:  write_only
        .address_space:  global
        .offset:         48
        .size:           8
        .value_kind:     global_buffer
    .group_segment_fixed_size: 40
    .kernarg_segment_align: 8
    .kernarg_segment_size: 56
    .language:       OpenCL C
    .language_version:
      - 2
      - 0
    .max_flat_workgroup_size: 256
    .name:           _ZN9rocsparseL46csr2bsr_nnz_wavefront_per_row_multipass_kernelILj256ELj32ELj8EliEEvT3_S1_S1_S1_S1_21rocsparse_index_base_PKT2_PKS1_S2_PS3_
    .private_segment_fixed_size: 0
    .sgpr_count:     19
    .sgpr_spill_count: 0
    .symbol:         _ZN9rocsparseL46csr2bsr_nnz_wavefront_per_row_multipass_kernelILj256ELj32ELj8EliEEvT3_S1_S1_S1_S1_21rocsparse_index_base_PKT2_PKS1_S2_PS3_.kd
    .uniform_work_group_size: 1
    .uses_dynamic_stack: false
    .vgpr_count:     31
    .vgpr_spill_count: 0
    .wavefront_size: 32
  - .args:
      - .offset:         0
        .size:           4
        .value_kind:     by_value
      - .offset:         4
        .size:           4
        .value_kind:     by_value
      - .offset:         8
        .size:           4
        .value_kind:     by_value
      - .offset:         12
        .size:           4
        .value_kind:     by_value
      - .offset:         16
        .size:           4
        .value_kind:     by_value
      - .offset:         20
        .size:           4
        .value_kind:     by_value
      - .actual_access:  read_only
        .address_space:  global
        .offset:         24
        .size:           8
        .value_kind:     global_buffer
      - .actual_access:  read_only
        .address_space:  global
        .offset:         32
        .size:           8
        .value_kind:     global_buffer
      - .offset:         40
        .size:           4
        .value_kind:     by_value
      - .actual_access:  write_only
        .address_space:  global
        .offset:         48
        .size:           8
        .value_kind:     global_buffer
    .group_segment_fixed_size: 20
    .kernarg_segment_align: 8
    .kernarg_segment_size: 56
    .language:       OpenCL C
    .language_version:
      - 2
      - 0
    .max_flat_workgroup_size: 256
    .name:           _ZN9rocsparseL46csr2bsr_nnz_wavefront_per_row_multipass_kernelILj256ELj64ELj16EliEEvT3_S1_S1_S1_S1_21rocsparse_index_base_PKT2_PKS1_S2_PS3_
    .private_segment_fixed_size: 0
    .sgpr_count:     19
    .sgpr_spill_count: 0
    .symbol:         _ZN9rocsparseL46csr2bsr_nnz_wavefront_per_row_multipass_kernelILj256ELj64ELj16EliEEvT3_S1_S1_S1_S1_21rocsparse_index_base_PKT2_PKS1_S2_PS3_.kd
    .uniform_work_group_size: 1
    .uses_dynamic_stack: false
    .vgpr_count:     32
    .vgpr_spill_count: 0
    .wavefront_size: 32
  - .args:
      - .offset:         0
        .size:           4
        .value_kind:     by_value
      - .offset:         4
        .size:           4
        .value_kind:     by_value
      - .offset:         8
        .size:           4
        .value_kind:     by_value
      - .offset:         12
        .size:           4
        .value_kind:     by_value
      - .offset:         16
        .size:           4
        .value_kind:     by_value
      - .offset:         20
        .size:           4
        .value_kind:     by_value
      - .actual_access:  read_only
        .address_space:  global
        .offset:         24
        .size:           8
        .value_kind:     global_buffer
      - .actual_access:  read_only
        .address_space:  global
        .offset:         32
        .size:           8
        .value_kind:     global_buffer
      - .offset:         40
        .size:           4
        .value_kind:     by_value
      - .actual_access:  write_only
        .address_space:  global
        .offset:         48
        .size:           8
        .value_kind:     global_buffer
    .group_segment_fixed_size: 40
    .kernarg_segment_align: 8
    .kernarg_segment_size: 56
    .language:       OpenCL C
    .language_version:
      - 2
      - 0
    .max_flat_workgroup_size: 256
    .name:           _ZN9rocsparseL46csr2bsr_nnz_wavefront_per_row_multipass_kernelILj256ELj32ELj16EliEEvT3_S1_S1_S1_S1_21rocsparse_index_base_PKT2_PKS1_S2_PS3_
    .private_segment_fixed_size: 0
    .sgpr_count:     19
    .sgpr_spill_count: 0
    .symbol:         _ZN9rocsparseL46csr2bsr_nnz_wavefront_per_row_multipass_kernelILj256ELj32ELj16EliEEvT3_S1_S1_S1_S1_21rocsparse_index_base_PKT2_PKS1_S2_PS3_.kd
    .uniform_work_group_size: 1
    .uses_dynamic_stack: false
    .vgpr_count:     31
    .vgpr_spill_count: 0
    .wavefront_size: 32
  - .args:
      - .offset:         0
        .size:           4
        .value_kind:     by_value
      - .offset:         4
        .size:           4
        .value_kind:     by_value
      - .offset:         8
        .size:           4
        .value_kind:     by_value
      - .offset:         12
        .size:           4
        .value_kind:     by_value
      - .offset:         16
        .size:           4
        .value_kind:     by_value
      - .offset:         20
        .size:           4
        .value_kind:     by_value
      - .actual_access:  read_only
        .address_space:  global
        .offset:         24
        .size:           8
        .value_kind:     global_buffer
      - .actual_access:  read_only
        .address_space:  global
        .offset:         32
        .size:           8
        .value_kind:     global_buffer
      - .offset:         40
        .size:           4
        .value_kind:     by_value
      - .actual_access:  write_only
        .address_space:  global
        .offset:         48
        .size:           8
        .value_kind:     global_buffer
    .group_segment_fixed_size: 1032
    .kernarg_segment_align: 8
    .kernarg_segment_size: 56
    .language:       OpenCL C
    .language_version:
      - 2
      - 0
    .max_flat_workgroup_size: 256
    .name:           _ZN9rocsparseL42csr2bsr_nnz_block_per_row_multipass_kernelILj256ELj32EliEEvT2_S1_S1_S1_S1_21rocsparse_index_base_PKT1_PKS1_S2_PS3_
    .private_segment_fixed_size: 0
    .sgpr_count:     25
    .sgpr_spill_count: 0
    .symbol:         _ZN9rocsparseL42csr2bsr_nnz_block_per_row_multipass_kernelILj256ELj32EliEEvT2_S1_S1_S1_S1_21rocsparse_index_base_PKT1_PKS1_S2_PS3_.kd
    .uniform_work_group_size: 1
    .uses_dynamic_stack: false
    .vgpr_count:     26
    .vgpr_spill_count: 0
    .wavefront_size: 32
  - .args:
      - .offset:         0
        .size:           4
        .value_kind:     by_value
      - .offset:         4
        .size:           4
        .value_kind:     by_value
      - .offset:         8
        .size:           4
        .value_kind:     by_value
      - .offset:         12
        .size:           4
        .value_kind:     by_value
      - .offset:         16
        .size:           4
        .value_kind:     by_value
      - .offset:         20
        .size:           4
        .value_kind:     by_value
      - .actual_access:  read_only
        .address_space:  global
        .offset:         24
        .size:           8
        .value_kind:     global_buffer
      - .actual_access:  read_only
        .address_space:  global
        .offset:         32
        .size:           8
        .value_kind:     global_buffer
      - .offset:         40
        .size:           4
        .value_kind:     by_value
      - .actual_access:  write_only
        .address_space:  global
        .offset:         48
        .size:           8
        .value_kind:     global_buffer
    .group_segment_fixed_size: 1032
    .kernarg_segment_align: 8
    .kernarg_segment_size: 56
    .language:       OpenCL C
    .language_version:
      - 2
      - 0
    .max_flat_workgroup_size: 256
    .name:           _ZN9rocsparseL42csr2bsr_nnz_block_per_row_multipass_kernelILj256ELj64EliEEvT2_S1_S1_S1_S1_21rocsparse_index_base_PKT1_PKS1_S2_PS3_
    .private_segment_fixed_size: 0
    .sgpr_count:     25
    .sgpr_spill_count: 0
    .symbol:         _ZN9rocsparseL42csr2bsr_nnz_block_per_row_multipass_kernelILj256ELj64EliEEvT2_S1_S1_S1_S1_21rocsparse_index_base_PKT1_PKS1_S2_PS3_.kd
    .uniform_work_group_size: 1
    .uses_dynamic_stack: false
    .vgpr_count:     25
    .vgpr_spill_count: 0
    .wavefront_size: 32
  - .args:
      - .offset:         0
        .size:           4
        .value_kind:     by_value
      - .offset:         4
        .size:           4
        .value_kind:     by_value
      - .offset:         8
        .size:           4
        .value_kind:     by_value
      - .offset:         12
        .size:           4
        .value_kind:     by_value
      - .offset:         16
        .size:           4
        .value_kind:     by_value
      - .offset:         20
        .size:           4
        .value_kind:     by_value
      - .offset:         24
        .size:           4
        .value_kind:     by_value
      - .actual_access:  read_only
        .address_space:  global
        .offset:         32
        .size:           8
        .value_kind:     global_buffer
      - .actual_access:  read_only
        .address_space:  global
        .offset:         40
        .size:           8
        .value_kind:     global_buffer
      - .offset:         48
        .size:           4
        .value_kind:     by_value
      - .actual_access:  write_only
        .address_space:  global
        .offset:         56
        .size:           8
        .value_kind:     global_buffer
      - .address_space:  global
        .offset:         64
        .size:           8
        .value_kind:     global_buffer
    .group_segment_fixed_size: 0
    .kernarg_segment_align: 8
    .kernarg_segment_size: 72
    .language:       OpenCL C
    .language_version:
      - 2
      - 0
    .max_flat_workgroup_size: 32
    .name:           _ZN9rocsparseL25csr2bsr_nnz_65_inf_kernelILj32EliEEvT1_S1_S1_S1_S1_S1_21rocsparse_index_base_PKT0_PKS1_S2_PS3_S8_
    .private_segment_fixed_size: 0
    .sgpr_count:     29
    .sgpr_spill_count: 0
    .symbol:         _ZN9rocsparseL25csr2bsr_nnz_65_inf_kernelILj32EliEEvT1_S1_S1_S1_S1_S1_21rocsparse_index_base_PKT0_PKS1_S2_PS3_S8_.kd
    .uniform_work_group_size: 1
    .uses_dynamic_stack: false
    .vgpr_count:     28
    .vgpr_spill_count: 0
    .wavefront_size: 32
  - .args:
      - .offset:         0
        .size:           4
        .value_kind:     by_value
      - .actual_access:  read_only
        .address_space:  global
        .offset:         8
        .size:           8
        .value_kind:     global_buffer
      - .actual_access:  write_only
        .address_space:  global
        .offset:         16
        .size:           8
        .value_kind:     global_buffer
    .group_segment_fixed_size: 0
    .kernarg_segment_align: 8
    .kernarg_segment_size: 24
    .language:       OpenCL C
    .language_version:
      - 2
      - 0
    .max_flat_workgroup_size: 1
    .name:           _ZN9rocsparseL36csr2bsr_nnz_compute_nnz_total_kernelILj1EliEEvT1_PKT0_PS2_
    .private_segment_fixed_size: 0
    .sgpr_count:     10
    .sgpr_spill_count: 0
    .symbol:         _ZN9rocsparseL36csr2bsr_nnz_compute_nnz_total_kernelILj1EliEEvT1_PKT0_PS2_.kd
    .uniform_work_group_size: 1
    .uses_dynamic_stack: false
    .vgpr_count:     3
    .vgpr_spill_count: 0
    .wavefront_size: 32
  - .args:
      - .offset:         0
        .size:           8
        .value_kind:     by_value
      - .offset:         8
        .size:           4
        .value_kind:     by_value
      - .actual_access:  read_only
        .address_space:  global
        .offset:         16
        .size:           8
        .value_kind:     global_buffer
      - .offset:         24
        .size:           4
        .value_kind:     by_value
      - .actual_access:  write_only
        .address_space:  global
        .offset:         32
        .size:           8
        .value_kind:     global_buffer
      - .actual_access:  write_only
        .address_space:  global
        .offset:         40
        .size:           8
        .value_kind:     global_buffer
      - .offset:         48
        .size:           4
        .value_kind:     hidden_block_count_x
      - .offset:         52
        .size:           4
        .value_kind:     hidden_block_count_y
      - .offset:         56
        .size:           4
        .value_kind:     hidden_block_count_z
      - .offset:         60
        .size:           2
        .value_kind:     hidden_group_size_x
      - .offset:         62
        .size:           2
        .value_kind:     hidden_group_size_y
      - .offset:         64
        .size:           2
        .value_kind:     hidden_group_size_z
      - .offset:         66
        .size:           2
        .value_kind:     hidden_remainder_x
      - .offset:         68
        .size:           2
        .value_kind:     hidden_remainder_y
      - .offset:         70
        .size:           2
        .value_kind:     hidden_remainder_z
      - .offset:         88
        .size:           8
        .value_kind:     hidden_global_offset_x
      - .offset:         96
        .size:           8
        .value_kind:     hidden_global_offset_y
      - .offset:         104
        .size:           8
        .value_kind:     hidden_global_offset_z
      - .offset:         112
        .size:           2
        .value_kind:     hidden_grid_dims
    .group_segment_fixed_size: 0
    .kernarg_segment_align: 8
    .kernarg_segment_size: 304
    .language:       OpenCL C
    .language_version:
      - 2
      - 0
    .max_flat_workgroup_size: 256
    .name:           _ZN9rocsparseL39csr2bsr_nnz_block_dim_equals_one_kernelILj256EilEEvT1_21rocsparse_index_base_PKT0_S2_PS3_S6_
    .private_segment_fixed_size: 0
    .sgpr_count:     11
    .sgpr_spill_count: 0
    .symbol:         _ZN9rocsparseL39csr2bsr_nnz_block_dim_equals_one_kernelILj256EilEEvT1_21rocsparse_index_base_PKT0_S2_PS3_S6_.kd
    .uniform_work_group_size: 1
    .uses_dynamic_stack: false
    .vgpr_count:     6
    .vgpr_spill_count: 0
    .wavefront_size: 32
  - .args:
      - .offset:         0
        .size:           8
        .value_kind:     by_value
      - .offset:         8
        .size:           4
        .value_kind:     by_value
      - .actual_access:  read_only
        .address_space:  global
        .offset:         16
        .size:           8
        .value_kind:     global_buffer
      - .offset:         24
        .size:           4
        .value_kind:     by_value
      - .actual_access:  write_only
        .address_space:  global
        .offset:         32
        .size:           8
        .value_kind:     global_buffer
    .group_segment_fixed_size: 0
    .kernarg_segment_align: 8
    .kernarg_segment_size: 40
    .language:       OpenCL C
    .language_version:
      - 2
      - 0
    .max_flat_workgroup_size: 256
    .name:           _ZN9rocsparseL39csr2bsr_nnz_block_dim_equals_one_kernelILj256EilEEvT1_21rocsparse_index_base_PKT0_S2_PS3_
    .private_segment_fixed_size: 0
    .sgpr_count:     10
    .sgpr_spill_count: 0
    .symbol:         _ZN9rocsparseL39csr2bsr_nnz_block_dim_equals_one_kernelILj256EilEEvT1_21rocsparse_index_base_PKT0_S2_PS3_.kd
    .uniform_work_group_size: 1
    .uses_dynamic_stack: false
    .vgpr_count:     4
    .vgpr_spill_count: 0
    .wavefront_size: 32
  - .args:
      - .offset:         0
        .size:           8
        .value_kind:     by_value
      - .offset:         8
        .size:           8
        .value_kind:     by_value
      - .offset:         16
        .size:           8
        .value_kind:     by_value
      - .offset:         24
        .size:           8
        .value_kind:     by_value
      - .offset:         32
        .size:           8
        .value_kind:     by_value
      - .offset:         40
        .size:           4
        .value_kind:     by_value
      - .actual_access:  read_only
        .address_space:  global
        .offset:         48
        .size:           8
        .value_kind:     global_buffer
      - .actual_access:  read_only
        .address_space:  global
        .offset:         56
        .size:           8
        .value_kind:     global_buffer
      - .offset:         64
        .size:           4
        .value_kind:     by_value
      - .actual_access:  write_only
        .address_space:  global
        .offset:         72
        .size:           8
        .value_kind:     global_buffer
    .group_segment_fixed_size: 144
    .kernarg_segment_align: 8
    .kernarg_segment_size: 80
    .language:       OpenCL C
    .language_version:
      - 2
      - 0
    .max_flat_workgroup_size: 256
    .name:           _ZN9rocsparseL46csr2bsr_nnz_wavefront_per_row_multipass_kernelILj256ELj16ELj4EilEEvT3_S1_S1_S1_S1_21rocsparse_index_base_PKT2_PKS1_S2_PS3_
    .private_segment_fixed_size: 0
    .sgpr_count:     40
    .sgpr_spill_count: 0
    .symbol:         _ZN9rocsparseL46csr2bsr_nnz_wavefront_per_row_multipass_kernelILj256ELj16ELj4EilEEvT3_S1_S1_S1_S1_21rocsparse_index_base_PKT2_PKS1_S2_PS3_.kd
    .uniform_work_group_size: 1
    .uses_dynamic_stack: false
    .vgpr_count:     34
    .vgpr_spill_count: 0
    .wavefront_size: 32
  - .args:
      - .offset:         0
        .size:           8
        .value_kind:     by_value
      - .offset:         8
        .size:           8
        .value_kind:     by_value
      - .offset:         16
        .size:           8
        .value_kind:     by_value
      - .offset:         24
        .size:           8
        .value_kind:     by_value
      - .offset:         32
        .size:           8
        .value_kind:     by_value
      - .offset:         40
        .size:           4
        .value_kind:     by_value
      - .actual_access:  read_only
        .address_space:  global
        .offset:         48
        .size:           8
        .value_kind:     global_buffer
      - .actual_access:  read_only
        .address_space:  global
        .offset:         56
        .size:           8
        .value_kind:     global_buffer
      - .offset:         64
        .size:           4
        .value_kind:     by_value
      - .actual_access:  write_only
        .address_space:  global
        .offset:         72
        .size:           8
        .value_kind:     global_buffer
    .group_segment_fixed_size: 40
    .kernarg_segment_align: 8
    .kernarg_segment_size: 80
    .language:       OpenCL C
    .language_version:
      - 2
      - 0
    .max_flat_workgroup_size: 256
    .name:           _ZN9rocsparseL46csr2bsr_nnz_wavefront_per_row_multipass_kernelILj256ELj64ELj8EilEEvT3_S1_S1_S1_S1_21rocsparse_index_base_PKT2_PKS1_S2_PS3_
    .private_segment_fixed_size: 0
    .sgpr_count:     40
    .sgpr_spill_count: 0
    .symbol:         _ZN9rocsparseL46csr2bsr_nnz_wavefront_per_row_multipass_kernelILj256ELj64ELj8EilEEvT3_S1_S1_S1_S1_21rocsparse_index_base_PKT2_PKS1_S2_PS3_.kd
    .uniform_work_group_size: 1
    .uses_dynamic_stack: false
    .vgpr_count:     36
    .vgpr_spill_count: 0
    .wavefront_size: 32
  - .args:
      - .offset:         0
        .size:           8
        .value_kind:     by_value
      - .offset:         8
        .size:           8
        .value_kind:     by_value
      - .offset:         16
        .size:           8
        .value_kind:     by_value
      - .offset:         24
        .size:           8
        .value_kind:     by_value
      - .offset:         32
        .size:           8
        .value_kind:     by_value
      - .offset:         40
        .size:           4
        .value_kind:     by_value
      - .actual_access:  read_only
        .address_space:  global
        .offset:         48
        .size:           8
        .value_kind:     global_buffer
      - .actual_access:  read_only
        .address_space:  global
        .offset:         56
        .size:           8
        .value_kind:     global_buffer
      - .offset:         64
        .size:           4
        .value_kind:     by_value
      - .actual_access:  write_only
        .address_space:  global
        .offset:         72
        .size:           8
        .value_kind:     global_buffer
    .group_segment_fixed_size: 72
    .kernarg_segment_align: 8
    .kernarg_segment_size: 80
    .language:       OpenCL C
    .language_version:
      - 2
      - 0
    .max_flat_workgroup_size: 256
    .name:           _ZN9rocsparseL46csr2bsr_nnz_wavefront_per_row_multipass_kernelILj256ELj32ELj8EilEEvT3_S1_S1_S1_S1_21rocsparse_index_base_PKT2_PKS1_S2_PS3_
    .private_segment_fixed_size: 0
    .sgpr_count:     40
    .sgpr_spill_count: 0
    .symbol:         _ZN9rocsparseL46csr2bsr_nnz_wavefront_per_row_multipass_kernelILj256ELj32ELj8EilEEvT3_S1_S1_S1_S1_21rocsparse_index_base_PKT2_PKS1_S2_PS3_.kd
    .uniform_work_group_size: 1
    .uses_dynamic_stack: false
    .vgpr_count:     36
    .vgpr_spill_count: 0
    .wavefront_size: 32
  - .args:
      - .offset:         0
        .size:           8
        .value_kind:     by_value
      - .offset:         8
        .size:           8
        .value_kind:     by_value
      - .offset:         16
        .size:           8
        .value_kind:     by_value
      - .offset:         24
        .size:           8
        .value_kind:     by_value
      - .offset:         32
        .size:           8
        .value_kind:     by_value
      - .offset:         40
        .size:           4
        .value_kind:     by_value
      - .actual_access:  read_only
        .address_space:  global
        .offset:         48
        .size:           8
        .value_kind:     global_buffer
      - .actual_access:  read_only
        .address_space:  global
        .offset:         56
        .size:           8
        .value_kind:     global_buffer
      - .offset:         64
        .size:           4
        .value_kind:     by_value
      - .actual_access:  write_only
        .address_space:  global
        .offset:         72
        .size:           8
        .value_kind:     global_buffer
    .group_segment_fixed_size: 40
    .kernarg_segment_align: 8
    .kernarg_segment_size: 80
    .language:       OpenCL C
    .language_version:
      - 2
      - 0
    .max_flat_workgroup_size: 256
    .name:           _ZN9rocsparseL46csr2bsr_nnz_wavefront_per_row_multipass_kernelILj256ELj64ELj16EilEEvT3_S1_S1_S1_S1_21rocsparse_index_base_PKT2_PKS1_S2_PS3_
    .private_segment_fixed_size: 0
    .sgpr_count:     40
    .sgpr_spill_count: 0
    .symbol:         _ZN9rocsparseL46csr2bsr_nnz_wavefront_per_row_multipass_kernelILj256ELj64ELj16EilEEvT3_S1_S1_S1_S1_21rocsparse_index_base_PKT2_PKS1_S2_PS3_.kd
    .uniform_work_group_size: 1
    .uses_dynamic_stack: false
    .vgpr_count:     36
    .vgpr_spill_count: 0
    .wavefront_size: 32
  - .args:
      - .offset:         0
        .size:           8
        .value_kind:     by_value
      - .offset:         8
        .size:           8
        .value_kind:     by_value
      - .offset:         16
        .size:           8
        .value_kind:     by_value
      - .offset:         24
        .size:           8
        .value_kind:     by_value
      - .offset:         32
        .size:           8
        .value_kind:     by_value
      - .offset:         40
        .size:           4
        .value_kind:     by_value
      - .actual_access:  read_only
        .address_space:  global
        .offset:         48
        .size:           8
        .value_kind:     global_buffer
      - .actual_access:  read_only
        .address_space:  global
        .offset:         56
        .size:           8
        .value_kind:     global_buffer
      - .offset:         64
        .size:           4
        .value_kind:     by_value
      - .actual_access:  write_only
        .address_space:  global
        .offset:         72
        .size:           8
        .value_kind:     global_buffer
    .group_segment_fixed_size: 72
    .kernarg_segment_align: 8
    .kernarg_segment_size: 80
    .language:       OpenCL C
    .language_version:
      - 2
      - 0
    .max_flat_workgroup_size: 256
    .name:           _ZN9rocsparseL46csr2bsr_nnz_wavefront_per_row_multipass_kernelILj256ELj32ELj16EilEEvT3_S1_S1_S1_S1_21rocsparse_index_base_PKT2_PKS1_S2_PS3_
    .private_segment_fixed_size: 0
    .sgpr_count:     40
    .sgpr_spill_count: 0
    .symbol:         _ZN9rocsparseL46csr2bsr_nnz_wavefront_per_row_multipass_kernelILj256ELj32ELj16EilEEvT3_S1_S1_S1_S1_21rocsparse_index_base_PKT2_PKS1_S2_PS3_.kd
    .uniform_work_group_size: 1
    .uses_dynamic_stack: false
    .vgpr_count:     36
    .vgpr_spill_count: 0
    .wavefront_size: 32
  - .args:
      - .offset:         0
        .size:           8
        .value_kind:     by_value
      - .offset:         8
        .size:           8
        .value_kind:     by_value
      - .offset:         16
        .size:           8
        .value_kind:     by_value
      - .offset:         24
        .size:           8
        .value_kind:     by_value
      - .offset:         32
        .size:           8
        .value_kind:     by_value
      - .offset:         40
        .size:           4
        .value_kind:     by_value
      - .actual_access:  read_only
        .address_space:  global
        .offset:         48
        .size:           8
        .value_kind:     global_buffer
      - .actual_access:  read_only
        .address_space:  global
        .offset:         56
        .size:           8
        .value_kind:     global_buffer
      - .offset:         64
        .size:           4
        .value_kind:     by_value
      - .actual_access:  write_only
        .address_space:  global
        .offset:         72
        .size:           8
        .value_kind:     global_buffer
    .group_segment_fixed_size: 2064
    .kernarg_segment_align: 8
    .kernarg_segment_size: 80
    .language:       OpenCL C
    .language_version:
      - 2
      - 0
    .max_flat_workgroup_size: 256
    .name:           _ZN9rocsparseL42csr2bsr_nnz_block_per_row_multipass_kernelILj256ELj32EilEEvT2_S1_S1_S1_S1_21rocsparse_index_base_PKT1_PKS1_S2_PS3_
    .private_segment_fixed_size: 0
    .sgpr_count:     45
    .sgpr_spill_count: 0
    .symbol:         _ZN9rocsparseL42csr2bsr_nnz_block_per_row_multipass_kernelILj256ELj32EilEEvT2_S1_S1_S1_S1_21rocsparse_index_base_PKT1_PKS1_S2_PS3_.kd
    .uniform_work_group_size: 1
    .uses_dynamic_stack: false
    .vgpr_count:     32
    .vgpr_spill_count: 0
    .wavefront_size: 32
  - .args:
      - .offset:         0
        .size:           8
        .value_kind:     by_value
      - .offset:         8
        .size:           8
        .value_kind:     by_value
      - .offset:         16
        .size:           8
        .value_kind:     by_value
      - .offset:         24
        .size:           8
        .value_kind:     by_value
      - .offset:         32
        .size:           8
        .value_kind:     by_value
      - .offset:         40
        .size:           4
        .value_kind:     by_value
      - .actual_access:  read_only
        .address_space:  global
        .offset:         48
        .size:           8
        .value_kind:     global_buffer
      - .actual_access:  read_only
        .address_space:  global
        .offset:         56
        .size:           8
        .value_kind:     global_buffer
      - .offset:         64
        .size:           4
        .value_kind:     by_value
      - .actual_access:  write_only
        .address_space:  global
        .offset:         72
        .size:           8
        .value_kind:     global_buffer
    .group_segment_fixed_size: 2064
    .kernarg_segment_align: 8
    .kernarg_segment_size: 80
    .language:       OpenCL C
    .language_version:
      - 2
      - 0
    .max_flat_workgroup_size: 256
    .name:           _ZN9rocsparseL42csr2bsr_nnz_block_per_row_multipass_kernelILj256ELj64EilEEvT2_S1_S1_S1_S1_21rocsparse_index_base_PKT1_PKS1_S2_PS3_
    .private_segment_fixed_size: 0
    .sgpr_count:     45
    .sgpr_spill_count: 0
    .symbol:         _ZN9rocsparseL42csr2bsr_nnz_block_per_row_multipass_kernelILj256ELj64EilEEvT2_S1_S1_S1_S1_21rocsparse_index_base_PKT1_PKS1_S2_PS3_.kd
    .uniform_work_group_size: 1
    .uses_dynamic_stack: false
    .vgpr_count:     30
    .vgpr_spill_count: 0
    .wavefront_size: 32
  - .args:
      - .offset:         0
        .size:           8
        .value_kind:     by_value
      - .offset:         8
        .size:           8
        .value_kind:     by_value
      - .offset:         16
        .size:           8
        .value_kind:     by_value
      - .offset:         24
        .size:           8
        .value_kind:     by_value
      - .offset:         32
        .size:           8
        .value_kind:     by_value
      - .offset:         40
        .size:           8
        .value_kind:     by_value
      - .offset:         48
        .size:           4
        .value_kind:     by_value
      - .actual_access:  read_only
        .address_space:  global
        .offset:         56
        .size:           8
        .value_kind:     global_buffer
      - .actual_access:  read_only
        .address_space:  global
        .offset:         64
        .size:           8
        .value_kind:     global_buffer
      - .offset:         72
        .size:           4
        .value_kind:     by_value
      - .actual_access:  write_only
        .address_space:  global
        .offset:         80
        .size:           8
        .value_kind:     global_buffer
      - .address_space:  global
        .offset:         88
        .size:           8
        .value_kind:     global_buffer
    .group_segment_fixed_size: 0
    .kernarg_segment_align: 8
    .kernarg_segment_size: 96
    .language:       OpenCL C
    .language_version:
      - 2
      - 0
    .max_flat_workgroup_size: 32
    .name:           _ZN9rocsparseL25csr2bsr_nnz_65_inf_kernelILj32EilEEvT1_S1_S1_S1_S1_S1_21rocsparse_index_base_PKT0_PKS1_S2_PS3_S8_
    .private_segment_fixed_size: 0
    .sgpr_count:     50
    .sgpr_spill_count: 0
    .symbol:         _ZN9rocsparseL25csr2bsr_nnz_65_inf_kernelILj32EilEEvT1_S1_S1_S1_S1_S1_21rocsparse_index_base_PKT0_PKS1_S2_PS3_S8_.kd
    .uniform_work_group_size: 1
    .uses_dynamic_stack: false
    .vgpr_count:     38
    .vgpr_spill_count: 0
    .wavefront_size: 32
  - .args:
      - .offset:         0
        .size:           8
        .value_kind:     by_value
      - .actual_access:  read_only
        .address_space:  global
        .offset:         8
        .size:           8
        .value_kind:     global_buffer
      - .actual_access:  write_only
        .address_space:  global
        .offset:         16
        .size:           8
        .value_kind:     global_buffer
    .group_segment_fixed_size: 0
    .kernarg_segment_align: 8
    .kernarg_segment_size: 24
    .language:       OpenCL C
    .language_version:
      - 2
      - 0
    .max_flat_workgroup_size: 1
    .name:           _ZN9rocsparseL36csr2bsr_nnz_compute_nnz_total_kernelILj1EilEEvT1_PKT0_PS2_
    .private_segment_fixed_size: 0
    .sgpr_count:     8
    .sgpr_spill_count: 0
    .symbol:         _ZN9rocsparseL36csr2bsr_nnz_compute_nnz_total_kernelILj1EilEEvT1_PKT0_PS2_.kd
    .uniform_work_group_size: 1
    .uses_dynamic_stack: false
    .vgpr_count:     2
    .vgpr_spill_count: 0
    .wavefront_size: 32
  - .args:
      - .offset:         0
        .size:           8
        .value_kind:     by_value
      - .offset:         8
        .size:           4
        .value_kind:     by_value
      - .actual_access:  read_only
        .address_space:  global
        .offset:         16
        .size:           8
        .value_kind:     global_buffer
      - .offset:         24
        .size:           4
        .value_kind:     by_value
      - .actual_access:  write_only
        .address_space:  global
        .offset:         32
        .size:           8
        .value_kind:     global_buffer
      - .actual_access:  write_only
        .address_space:  global
        .offset:         40
        .size:           8
        .value_kind:     global_buffer
      - .offset:         48
        .size:           4
        .value_kind:     hidden_block_count_x
      - .offset:         52
        .size:           4
        .value_kind:     hidden_block_count_y
      - .offset:         56
        .size:           4
        .value_kind:     hidden_block_count_z
      - .offset:         60
        .size:           2
        .value_kind:     hidden_group_size_x
      - .offset:         62
        .size:           2
        .value_kind:     hidden_group_size_y
      - .offset:         64
        .size:           2
        .value_kind:     hidden_group_size_z
      - .offset:         66
        .size:           2
        .value_kind:     hidden_remainder_x
      - .offset:         68
        .size:           2
        .value_kind:     hidden_remainder_y
      - .offset:         70
        .size:           2
        .value_kind:     hidden_remainder_z
      - .offset:         88
        .size:           8
        .value_kind:     hidden_global_offset_x
      - .offset:         96
        .size:           8
        .value_kind:     hidden_global_offset_y
      - .offset:         104
        .size:           8
        .value_kind:     hidden_global_offset_z
      - .offset:         112
        .size:           2
        .value_kind:     hidden_grid_dims
    .group_segment_fixed_size: 0
    .kernarg_segment_align: 8
    .kernarg_segment_size: 304
    .language:       OpenCL C
    .language_version:
      - 2
      - 0
    .max_flat_workgroup_size: 256
    .name:           _ZN9rocsparseL39csr2bsr_nnz_block_dim_equals_one_kernelILj256EllEEvT1_21rocsparse_index_base_PKT0_S2_PS3_S6_
    .private_segment_fixed_size: 0
    .sgpr_count:     14
    .sgpr_spill_count: 0
    .symbol:         _ZN9rocsparseL39csr2bsr_nnz_block_dim_equals_one_kernelILj256EllEEvT1_21rocsparse_index_base_PKT0_S2_PS3_S6_.kd
    .uniform_work_group_size: 1
    .uses_dynamic_stack: false
    .vgpr_count:     6
    .vgpr_spill_count: 0
    .wavefront_size: 32
  - .args:
      - .offset:         0
        .size:           8
        .value_kind:     by_value
      - .offset:         8
        .size:           4
        .value_kind:     by_value
      - .actual_access:  read_only
        .address_space:  global
        .offset:         16
        .size:           8
        .value_kind:     global_buffer
      - .offset:         24
        .size:           4
        .value_kind:     by_value
      - .actual_access:  write_only
        .address_space:  global
        .offset:         32
        .size:           8
        .value_kind:     global_buffer
    .group_segment_fixed_size: 0
    .kernarg_segment_align: 8
    .kernarg_segment_size: 40
    .language:       OpenCL C
    .language_version:
      - 2
      - 0
    .max_flat_workgroup_size: 256
    .name:           _ZN9rocsparseL39csr2bsr_nnz_block_dim_equals_one_kernelILj256EllEEvT1_21rocsparse_index_base_PKT0_S2_PS3_
    .private_segment_fixed_size: 0
    .sgpr_count:     12
    .sgpr_spill_count: 0
    .symbol:         _ZN9rocsparseL39csr2bsr_nnz_block_dim_equals_one_kernelILj256EllEEvT1_21rocsparse_index_base_PKT0_S2_PS3_.kd
    .uniform_work_group_size: 1
    .uses_dynamic_stack: false
    .vgpr_count:     4
    .vgpr_spill_count: 0
    .wavefront_size: 32
  - .args:
      - .offset:         0
        .size:           8
        .value_kind:     by_value
      - .offset:         8
        .size:           8
        .value_kind:     by_value
      - .offset:         16
        .size:           8
        .value_kind:     by_value
      - .offset:         24
        .size:           8
        .value_kind:     by_value
      - .offset:         32
        .size:           8
        .value_kind:     by_value
      - .offset:         40
        .size:           4
        .value_kind:     by_value
      - .actual_access:  read_only
        .address_space:  global
        .offset:         48
        .size:           8
        .value_kind:     global_buffer
      - .actual_access:  read_only
        .address_space:  global
        .offset:         56
        .size:           8
        .value_kind:     global_buffer
      - .offset:         64
        .size:           4
        .value_kind:     by_value
      - .actual_access:  write_only
        .address_space:  global
        .offset:         72
        .size:           8
        .value_kind:     global_buffer
    .group_segment_fixed_size: 144
    .kernarg_segment_align: 8
    .kernarg_segment_size: 80
    .language:       OpenCL C
    .language_version:
      - 2
      - 0
    .max_flat_workgroup_size: 256
    .name:           _ZN9rocsparseL46csr2bsr_nnz_wavefront_per_row_multipass_kernelILj256ELj16ELj4EllEEvT3_S1_S1_S1_S1_21rocsparse_index_base_PKT2_PKS1_S2_PS3_
    .private_segment_fixed_size: 0
    .sgpr_count:     40
    .sgpr_spill_count: 0
    .symbol:         _ZN9rocsparseL46csr2bsr_nnz_wavefront_per_row_multipass_kernelILj256ELj16ELj4EllEEvT3_S1_S1_S1_S1_21rocsparse_index_base_PKT2_PKS1_S2_PS3_.kd
    .uniform_work_group_size: 1
    .uses_dynamic_stack: false
    .vgpr_count:     40
    .vgpr_spill_count: 0
    .wavefront_size: 32
  - .args:
      - .offset:         0
        .size:           8
        .value_kind:     by_value
      - .offset:         8
        .size:           8
        .value_kind:     by_value
      - .offset:         16
        .size:           8
        .value_kind:     by_value
      - .offset:         24
        .size:           8
        .value_kind:     by_value
      - .offset:         32
        .size:           8
        .value_kind:     by_value
      - .offset:         40
        .size:           4
        .value_kind:     by_value
      - .actual_access:  read_only
        .address_space:  global
        .offset:         48
        .size:           8
        .value_kind:     global_buffer
      - .actual_access:  read_only
        .address_space:  global
        .offset:         56
        .size:           8
        .value_kind:     global_buffer
      - .offset:         64
        .size:           4
        .value_kind:     by_value
      - .actual_access:  write_only
        .address_space:  global
        .offset:         72
        .size:           8
        .value_kind:     global_buffer
    .group_segment_fixed_size: 40
    .kernarg_segment_align: 8
    .kernarg_segment_size: 80
    .language:       OpenCL C
    .language_version:
      - 2
      - 0
    .max_flat_workgroup_size: 256
    .name:           _ZN9rocsparseL46csr2bsr_nnz_wavefront_per_row_multipass_kernelILj256ELj64ELj8EllEEvT3_S1_S1_S1_S1_21rocsparse_index_base_PKT2_PKS1_S2_PS3_
    .private_segment_fixed_size: 0
    .sgpr_count:     40
    .sgpr_spill_count: 0
    .symbol:         _ZN9rocsparseL46csr2bsr_nnz_wavefront_per_row_multipass_kernelILj256ELj64ELj8EllEEvT3_S1_S1_S1_S1_21rocsparse_index_base_PKT2_PKS1_S2_PS3_.kd
    .uniform_work_group_size: 1
    .uses_dynamic_stack: false
    .vgpr_count:     42
    .vgpr_spill_count: 0
    .wavefront_size: 32
  - .args:
      - .offset:         0
        .size:           8
        .value_kind:     by_value
      - .offset:         8
        .size:           8
        .value_kind:     by_value
      - .offset:         16
        .size:           8
        .value_kind:     by_value
      - .offset:         24
        .size:           8
        .value_kind:     by_value
      - .offset:         32
        .size:           8
        .value_kind:     by_value
      - .offset:         40
        .size:           4
        .value_kind:     by_value
      - .actual_access:  read_only
        .address_space:  global
        .offset:         48
        .size:           8
        .value_kind:     global_buffer
      - .actual_access:  read_only
        .address_space:  global
        .offset:         56
        .size:           8
        .value_kind:     global_buffer
      - .offset:         64
        .size:           4
        .value_kind:     by_value
      - .actual_access:  write_only
        .address_space:  global
        .offset:         72
        .size:           8
        .value_kind:     global_buffer
    .group_segment_fixed_size: 72
    .kernarg_segment_align: 8
    .kernarg_segment_size: 80
    .language:       OpenCL C
    .language_version:
      - 2
      - 0
    .max_flat_workgroup_size: 256
    .name:           _ZN9rocsparseL46csr2bsr_nnz_wavefront_per_row_multipass_kernelILj256ELj32ELj8EllEEvT3_S1_S1_S1_S1_21rocsparse_index_base_PKT2_PKS1_S2_PS3_
    .private_segment_fixed_size: 0
    .sgpr_count:     40
    .sgpr_spill_count: 0
    .symbol:         _ZN9rocsparseL46csr2bsr_nnz_wavefront_per_row_multipass_kernelILj256ELj32ELj8EllEEvT3_S1_S1_S1_S1_21rocsparse_index_base_PKT2_PKS1_S2_PS3_.kd
    .uniform_work_group_size: 1
    .uses_dynamic_stack: false
    .vgpr_count:     42
    .vgpr_spill_count: 0
    .wavefront_size: 32
  - .args:
      - .offset:         0
        .size:           8
        .value_kind:     by_value
      - .offset:         8
        .size:           8
        .value_kind:     by_value
      - .offset:         16
        .size:           8
        .value_kind:     by_value
      - .offset:         24
        .size:           8
        .value_kind:     by_value
      - .offset:         32
        .size:           8
        .value_kind:     by_value
      - .offset:         40
        .size:           4
        .value_kind:     by_value
      - .actual_access:  read_only
        .address_space:  global
        .offset:         48
        .size:           8
        .value_kind:     global_buffer
      - .actual_access:  read_only
        .address_space:  global
        .offset:         56
        .size:           8
        .value_kind:     global_buffer
      - .offset:         64
        .size:           4
        .value_kind:     by_value
      - .actual_access:  write_only
        .address_space:  global
        .offset:         72
        .size:           8
        .value_kind:     global_buffer
    .group_segment_fixed_size: 40
    .kernarg_segment_align: 8
    .kernarg_segment_size: 80
    .language:       OpenCL C
    .language_version:
      - 2
      - 0
    .max_flat_workgroup_size: 256
    .name:           _ZN9rocsparseL46csr2bsr_nnz_wavefront_per_row_multipass_kernelILj256ELj64ELj16EllEEvT3_S1_S1_S1_S1_21rocsparse_index_base_PKT2_PKS1_S2_PS3_
    .private_segment_fixed_size: 0
    .sgpr_count:     40
    .sgpr_spill_count: 0
    .symbol:         _ZN9rocsparseL46csr2bsr_nnz_wavefront_per_row_multipass_kernelILj256ELj64ELj16EllEEvT3_S1_S1_S1_S1_21rocsparse_index_base_PKT2_PKS1_S2_PS3_.kd
    .uniform_work_group_size: 1
    .uses_dynamic_stack: false
    .vgpr_count:     42
    .vgpr_spill_count: 0
    .wavefront_size: 32
  - .args:
      - .offset:         0
        .size:           8
        .value_kind:     by_value
      - .offset:         8
        .size:           8
        .value_kind:     by_value
      - .offset:         16
        .size:           8
        .value_kind:     by_value
      - .offset:         24
        .size:           8
        .value_kind:     by_value
      - .offset:         32
        .size:           8
        .value_kind:     by_value
      - .offset:         40
        .size:           4
        .value_kind:     by_value
      - .actual_access:  read_only
        .address_space:  global
        .offset:         48
        .size:           8
        .value_kind:     global_buffer
      - .actual_access:  read_only
        .address_space:  global
        .offset:         56
        .size:           8
        .value_kind:     global_buffer
      - .offset:         64
        .size:           4
        .value_kind:     by_value
      - .actual_access:  write_only
        .address_space:  global
        .offset:         72
        .size:           8
        .value_kind:     global_buffer
    .group_segment_fixed_size: 72
    .kernarg_segment_align: 8
    .kernarg_segment_size: 80
    .language:       OpenCL C
    .language_version:
      - 2
      - 0
    .max_flat_workgroup_size: 256
    .name:           _ZN9rocsparseL46csr2bsr_nnz_wavefront_per_row_multipass_kernelILj256ELj32ELj16EllEEvT3_S1_S1_S1_S1_21rocsparse_index_base_PKT2_PKS1_S2_PS3_
    .private_segment_fixed_size: 0
    .sgpr_count:     40
    .sgpr_spill_count: 0
    .symbol:         _ZN9rocsparseL46csr2bsr_nnz_wavefront_per_row_multipass_kernelILj256ELj32ELj16EllEEvT3_S1_S1_S1_S1_21rocsparse_index_base_PKT2_PKS1_S2_PS3_.kd
    .uniform_work_group_size: 1
    .uses_dynamic_stack: false
    .vgpr_count:     42
    .vgpr_spill_count: 0
    .wavefront_size: 32
  - .args:
      - .offset:         0
        .size:           8
        .value_kind:     by_value
      - .offset:         8
        .size:           8
        .value_kind:     by_value
      - .offset:         16
        .size:           8
        .value_kind:     by_value
      - .offset:         24
        .size:           8
        .value_kind:     by_value
      - .offset:         32
        .size:           8
        .value_kind:     by_value
      - .offset:         40
        .size:           4
        .value_kind:     by_value
      - .actual_access:  read_only
        .address_space:  global
        .offset:         48
        .size:           8
        .value_kind:     global_buffer
      - .actual_access:  read_only
        .address_space:  global
        .offset:         56
        .size:           8
        .value_kind:     global_buffer
      - .offset:         64
        .size:           4
        .value_kind:     by_value
      - .actual_access:  write_only
        .address_space:  global
        .offset:         72
        .size:           8
        .value_kind:     global_buffer
    .group_segment_fixed_size: 2064
    .kernarg_segment_align: 8
    .kernarg_segment_size: 80
    .language:       OpenCL C
    .language_version:
      - 2
      - 0
    .max_flat_workgroup_size: 256
    .name:           _ZN9rocsparseL42csr2bsr_nnz_block_per_row_multipass_kernelILj256ELj32EllEEvT2_S1_S1_S1_S1_21rocsparse_index_base_PKT1_PKS1_S2_PS3_
    .private_segment_fixed_size: 0
    .sgpr_count:     45
    .sgpr_spill_count: 0
    .symbol:         _ZN9rocsparseL42csr2bsr_nnz_block_per_row_multipass_kernelILj256ELj32EllEEvT2_S1_S1_S1_S1_21rocsparse_index_base_PKT1_PKS1_S2_PS3_.kd
    .uniform_work_group_size: 1
    .uses_dynamic_stack: false
    .vgpr_count:     38
    .vgpr_spill_count: 0
    .wavefront_size: 32
  - .args:
      - .offset:         0
        .size:           8
        .value_kind:     by_value
      - .offset:         8
        .size:           8
        .value_kind:     by_value
      - .offset:         16
        .size:           8
        .value_kind:     by_value
      - .offset:         24
        .size:           8
        .value_kind:     by_value
      - .offset:         32
        .size:           8
        .value_kind:     by_value
      - .offset:         40
        .size:           4
        .value_kind:     by_value
      - .actual_access:  read_only
        .address_space:  global
        .offset:         48
        .size:           8
        .value_kind:     global_buffer
      - .actual_access:  read_only
        .address_space:  global
        .offset:         56
        .size:           8
        .value_kind:     global_buffer
      - .offset:         64
        .size:           4
        .value_kind:     by_value
      - .actual_access:  write_only
        .address_space:  global
        .offset:         72
        .size:           8
        .value_kind:     global_buffer
    .group_segment_fixed_size: 2064
    .kernarg_segment_align: 8
    .kernarg_segment_size: 80
    .language:       OpenCL C
    .language_version:
      - 2
      - 0
    .max_flat_workgroup_size: 256
    .name:           _ZN9rocsparseL42csr2bsr_nnz_block_per_row_multipass_kernelILj256ELj64EllEEvT2_S1_S1_S1_S1_21rocsparse_index_base_PKT1_PKS1_S2_PS3_
    .private_segment_fixed_size: 0
    .sgpr_count:     45
    .sgpr_spill_count: 0
    .symbol:         _ZN9rocsparseL42csr2bsr_nnz_block_per_row_multipass_kernelILj256ELj64EllEEvT2_S1_S1_S1_S1_21rocsparse_index_base_PKT1_PKS1_S2_PS3_.kd
    .uniform_work_group_size: 1
    .uses_dynamic_stack: false
    .vgpr_count:     36
    .vgpr_spill_count: 0
    .wavefront_size: 32
  - .args:
      - .offset:         0
        .size:           8
        .value_kind:     by_value
      - .offset:         8
        .size:           8
        .value_kind:     by_value
      - .offset:         16
        .size:           8
        .value_kind:     by_value
      - .offset:         24
        .size:           8
        .value_kind:     by_value
      - .offset:         32
        .size:           8
        .value_kind:     by_value
      - .offset:         40
        .size:           8
        .value_kind:     by_value
      - .offset:         48
        .size:           4
        .value_kind:     by_value
      - .actual_access:  read_only
        .address_space:  global
        .offset:         56
        .size:           8
        .value_kind:     global_buffer
      - .actual_access:  read_only
        .address_space:  global
        .offset:         64
        .size:           8
        .value_kind:     global_buffer
      - .offset:         72
        .size:           4
        .value_kind:     by_value
      - .actual_access:  write_only
        .address_space:  global
        .offset:         80
        .size:           8
        .value_kind:     global_buffer
      - .address_space:  global
        .offset:         88
        .size:           8
        .value_kind:     global_buffer
    .group_segment_fixed_size: 0
    .kernarg_segment_align: 8
    .kernarg_segment_size: 96
    .language:       OpenCL C
    .language_version:
      - 2
      - 0
    .max_flat_workgroup_size: 32
    .name:           _ZN9rocsparseL25csr2bsr_nnz_65_inf_kernelILj32EllEEvT1_S1_S1_S1_S1_S1_21rocsparse_index_base_PKT0_PKS1_S2_PS3_S8_
    .private_segment_fixed_size: 0
    .sgpr_count:     50
    .sgpr_spill_count: 0
    .symbol:         _ZN9rocsparseL25csr2bsr_nnz_65_inf_kernelILj32EllEEvT1_S1_S1_S1_S1_S1_21rocsparse_index_base_PKT0_PKS1_S2_PS3_S8_.kd
    .uniform_work_group_size: 1
    .uses_dynamic_stack: false
    .vgpr_count:     42
    .vgpr_spill_count: 0
    .wavefront_size: 32
  - .args:
      - .offset:         0
        .size:           8
        .value_kind:     by_value
      - .actual_access:  read_only
        .address_space:  global
        .offset:         8
        .size:           8
        .value_kind:     global_buffer
      - .actual_access:  write_only
        .address_space:  global
        .offset:         16
        .size:           8
        .value_kind:     global_buffer
    .group_segment_fixed_size: 0
    .kernarg_segment_align: 8
    .kernarg_segment_size: 24
    .language:       OpenCL C
    .language_version:
      - 2
      - 0
    .max_flat_workgroup_size: 1
    .name:           _ZN9rocsparseL36csr2bsr_nnz_compute_nnz_total_kernelILj1EllEEvT1_PKT0_PS2_
    .private_segment_fixed_size: 0
    .sgpr_count:     10
    .sgpr_spill_count: 0
    .symbol:         _ZN9rocsparseL36csr2bsr_nnz_compute_nnz_total_kernelILj1EllEEvT1_PKT0_PS2_.kd
    .uniform_work_group_size: 1
    .uses_dynamic_stack: false
    .vgpr_count:     3
    .vgpr_spill_count: 0
    .wavefront_size: 32
amdhsa.target:   amdgcn-amd-amdhsa--gfx1250
amdhsa.version:
  - 1
  - 2
...

	.end_amdgpu_metadata
